;; amdgpu-corpus repo=ROCm/rocFFT kind=compiled arch=gfx950 opt=O3
	.text
	.amdgcn_target "amdgcn-amd-amdhsa--gfx950"
	.amdhsa_code_object_version 6
	.protected	bluestein_single_back_len2401_dim1_sp_op_CI_CI ; -- Begin function bluestein_single_back_len2401_dim1_sp_op_CI_CI
	.globl	bluestein_single_back_len2401_dim1_sp_op_CI_CI
	.p2align	8
	.type	bluestein_single_back_len2401_dim1_sp_op_CI_CI,@function
bluestein_single_back_len2401_dim1_sp_op_CI_CI: ; @bluestein_single_back_len2401_dim1_sp_op_CI_CI
; %bb.0:
	s_load_dwordx4 s[4:7], s[0:1], 0x28
	v_mul_u32_u24_e32 v1, 0x53a, v0
	v_add_u32_sdwa v186, s2, v1 dst_sel:DWORD dst_unused:UNUSED_PAD src0_sel:DWORD src1_sel:WORD_1
	v_mov_b32_e32 v187, 0
	s_waitcnt lgkmcnt(0)
	v_cmp_gt_u64_e32 vcc, s[4:5], v[186:187]
	s_and_saveexec_b64 s[2:3], vcc
	s_cbranch_execz .LBB0_2
; %bb.1:
	s_load_dwordx4 s[12:15], s[0:1], 0x18
	s_load_dwordx4 s[8:11], s[0:1], 0x0
	v_mov_b32_e32 v2, s6
	v_mov_b32_e32 v3, s7
	;; [unrolled: 1-line block ×3, first 2 shown]
	s_waitcnt lgkmcnt(0)
	s_load_dwordx4 s[4:7], s[14:15], 0x0
	v_mul_lo_u16_sdwa v1, v1, v4 dst_sel:DWORD dst_unused:UNUSED_PAD src0_sel:WORD_1 src1_sel:DWORD
	s_load_dwordx4 s[12:15], s[12:13], 0x0
	v_sub_u16_e32 v146, v0, v1
	v_mov_b32_e32 v52, 0xab8
	s_waitcnt lgkmcnt(0)
	v_mad_u64_u32 v[0:1], s[2:3], s6, v186, 0
	scratch_store_dwordx2 off, v[0:1], off offset:32 ; 8-byte Folded Spill
	v_mov_b32_e32 v0, v1
	v_mad_u64_u32 v[0:1], s[2:3], s7, v186, v[0:1]
	scratch_store_dwordx2 off, v[0:1], off offset:40 ; 8-byte Folded Spill
	v_mad_u64_u32 v[0:1], s[2:3], s14, v186, 0
	v_mov_b32_e32 v4, v1
	v_mad_u64_u32 v[4:5], s[2:3], s15, v186, v[4:5]
	v_mov_b32_e32 v1, v4
	;; [unrolled: 2-line block ×4, first 2 shown]
	v_lshl_add_u64 v[0:1], v[0:1], 3, v[2:3]
	v_lshl_add_u64 v[0:1], v[4:5], 3, v[0:1]
	global_load_dwordx2 v[22:23], v[0:1], off
	v_lshlrev_b32_e32 v186, 3, v146
	v_mad_u64_u32 v[0:1], s[2:3], s12, v52, v[0:1]
	global_load_dwordx2 v[28:29], v186, s[8:9]
	s_mul_i32 s2, s13, 0xab8
	v_add_u32_e32 v1, s2, v1
	global_load_dwordx2 v[26:27], v186, s[8:9] offset:2744
	global_load_dwordx2 v[4:5], v[0:1], off
	s_movk_i32 s16, 0x1000
	v_lshl_add_u64 v[92:93], s[8:9], 0, v[186:187]
	v_add_co_u32_e32 v2, vcc, s16, v92
	v_mad_u64_u32 v[6:7], s[18:19], s12, v52, v[0:1]
	s_movk_i32 s15, 0x2000
	v_addc_co_u32_e32 v3, vcc, 0, v93, vcc
	v_add_u32_e32 v7, s2, v7
	global_load_dwordx2 v[40:41], v[2:3], off offset:1392
	global_load_dwordx2 v[10:11], v[6:7], off
	v_add_co_u32_e32 v0, vcc, s15, v92
	v_mad_u64_u32 v[6:7], s[18:19], s12, v52, v[6:7]
	s_movk_i32 s14, 0x3000
	v_addc_co_u32_e32 v1, vcc, 0, v93, vcc
	global_load_dwordx2 v[38:39], v[0:1], off offset:40
	v_add_u32_e32 v7, s2, v7
	global_load_dwordx2 v[8:9], v[6:7], off
	v_mad_u64_u32 v[12:13], s[18:19], s12, v52, v[6:7]
	v_add_co_u32_e32 v6, vcc, s14, v92
	s_movk_i32 s6, 0x4000
	v_add_u32_e32 v13, s2, v13
	v_addc_co_u32_e32 v7, vcc, 0, v93, vcc
	global_load_dwordx2 v[36:37], v186, s[8:9] offset:392
	global_load_dwordx2 v[34:35], v186, s[8:9] offset:784
	;; [unrolled: 1-line block ×3, first 2 shown]
	global_load_dwordx2 v[46:47], v[0:1], off offset:2784
	global_load_dwordx2 v[18:19], v[12:13], off
	v_add_co_u32_e32 v98, vcc, s6, v92
	v_mad_u64_u32 v[12:13], s[6:7], s12, v52, v[12:13]
	v_add_u32_e32 v13, s2, v13
	v_addc_co_u32_e32 v99, vcc, 0, v93, vcc
	global_load_dwordx2 v[44:45], v[6:7], off offset:1432
	global_load_dwordx2 v[20:21], v[12:13], off
	global_load_dwordx2 v[42:43], v[98:99], off offset:80
	v_mad_u64_u32 v[12:13], s[6:7], s12, v52, v[12:13]
	v_mov_b32_e32 v48, 0xffffc138
	s_mul_i32 s3, s13, 0xffffc138
	v_add_u32_e32 v13, s2, v13
	s_sub_i32 s3, s3, s12
	global_load_dwordx2 v[16:17], v[12:13], off
	v_mad_u64_u32 v[24:25], s[6:7], s12, v48, v[12:13]
	v_add_u32_e32 v25, s3, v25
	global_load_dwordx2 v[14:15], v[24:25], off
	v_mad_u64_u32 v[24:25], s[6:7], s12, v52, v[24:25]
	v_add_u32_e32 v25, s2, v25
	global_load_dwordx2 v[66:67], v186, s[8:9] offset:1568
	global_load_dwordx2 v[64:65], v186, s[8:9] offset:1960
	;; [unrolled: 1-line block ×3, first 2 shown]
	v_mov_b64_e32 v[110:111], v[98:99]
	v_add_u32_e32 v185, 0x4000, v186
	v_accvgpr_write_b32 a189, v111
	v_accvgpr_write_b32 a188, v110
	s_mov_b32 s17, 0xbf3bfb3b
	s_load_dwordx2 s[0:1], s[0:1], 0x38
	s_waitcnt vmcnt(19)
	v_mul_f32_e32 v12, v23, v29
	v_mul_f32_e32 v13, v22, v29
	v_fmac_f32_e32 v12, v22, v28
	s_waitcnt vmcnt(17)
	v_mul_f32_e32 v22, v5, v27
	v_fmac_f32_e32 v22, v4, v26
	v_mul_f32_e32 v4, v4, v27
	v_mov_b64_e32 v[50:51], v[26:27]
	global_load_dwordx2 v[26:27], v[24:25], off
	global_load_dwordx2 v[84:85], v186, s[8:9] offset:3136
	v_mad_u64_u32 v[24:25], s[6:7], s12, v52, v[24:25]
	v_accvgpr_write_b32 a49, v29
	v_add_u32_e32 v25, s2, v25
	v_fma_f32 v13, v23, v28, -v13
	v_accvgpr_write_b32 a48, v28
	global_load_dwordx2 v[28:29], v[24:25], off
	global_load_dwordx2 v[96:97], v[2:3], off offset:1784
	v_mad_u64_u32 v[24:25], s[6:7], s12, v52, v[24:25]
	v_add_u32_e32 v25, s2, v25
	global_load_dwordx2 v[30:31], v[24:25], off
	global_load_dwordx2 v[82:83], v[0:1], off offset:432
	v_mad_u64_u32 v[24:25], s[6:7], s12, v52, v[24:25]
	v_add_u32_e32 v25, s2, v25
	v_fma_f32 v23, v5, v50, -v4
	v_mad_u64_u32 v[4:5], s[6:7], s12, v52, v[24:25]
	global_load_dwordx2 v[32:33], v[24:25], off
	global_load_dwordx2 v[80:81], v[0:1], off offset:3176
	v_accvgpr_write_b32 a93, v51
	ds_write_b64 v186, v[22:23] offset:2744
	v_add_u32_e32 v5, s2, v5
	v_accvgpr_write_b32 a92, v50
	global_load_dwordx2 v[22:23], v[4:5], off
	global_load_dwordx2 v[50:51], v[6:7], off offset:1824
	global_load_dwordx2 v[78:79], v[2:3], off offset:216
	;; [unrolled: 1-line block ×4, first 2 shown]
	s_waitcnt vmcnt(28)
	v_mul_f32_e32 v24, v11, v41
	v_fmac_f32_e32 v24, v10, v40
	v_mul_f32_e32 v10, v10, v41
	v_fma_f32 v25, v11, v40, -v10
	s_waitcnt vmcnt(26)
	v_mul_f32_e32 v10, v9, v39
	v_mad_u64_u32 v[4:5], s[6:7], s12, v52, v[4:5]
	v_accvgpr_write_b32 a97, v41
	ds_write_b64 v186, v[24:25] offset:5488
	v_fmac_f32_e32 v10, v8, v38
	v_add_u32_e32 v5, s2, v5
	v_mul_f32_e32 v8, v8, v39
	v_accvgpr_write_b32 a96, v40
	global_load_dwordx2 v[74:75], v[2:3], off offset:3352
	global_load_dwordx2 v[58:59], v[2:3], off offset:3744
	global_load_dwordx2 v[24:25], v[4:5], off
	global_load_dwordx2 v[40:41], v[98:99], off offset:472
	v_fma_f32 v11, v9, v38, -v8
	s_waitcnt vmcnt(25)
	v_mul_f32_e32 v8, v19, v47
	v_mul_f32_e32 v9, v18, v47
	ds_write_b64 v186, v[10:11] offset:8232
	v_fmac_f32_e32 v8, v18, v46
	v_fma_f32 v9, v19, v46, -v9
	global_load_dwordx2 v[100:101], v[0:1], off offset:3568
	global_load_dwordx2 v[60:61], v[0:1], off offset:2392
	v_mad_u64_u32 v[4:5], s[6:7], s12, v48, v[4:5]
	ds_write_b64 v186, v[8:9] offset:10976
	s_waitcnt vmcnt(25)
	v_mul_f32_e32 v8, v21, v45
	v_mul_f32_e32 v9, v20, v45
	v_add_u32_e32 v5, s3, v5
	v_fmac_f32_e32 v8, v20, v44
	v_fma_f32 v9, v21, v44, -v9
	global_load_dwordx2 v[10:11], v[4:5], off
	global_load_dwordx2 v[102:103], v[6:7], off offset:2216
	global_load_dwordx2 v[88:89], v[6:7], off offset:2608
	ds_write_b64 v186, v[8:9] offset:13720
	s_waitcnt vmcnt(26)
	v_mul_f32_e32 v8, v17, v43
	v_mul_f32_e32 v9, v16, v43
	v_fmac_f32_e32 v8, v16, v42
	v_fma_f32 v9, v17, v42, -v9
	v_mad_u64_u32 v[4:5], s[6:7], s12, v52, v[4:5]
	v_accvgpr_write_b32 a99, v47
	global_load_dwordx2 v[76:77], v[6:7], off offset:3000
	global_load_dwordx2 v[70:71], v[6:7], off offset:3392
	;; [unrolled: 1-line block ×3, first 2 shown]
	ds_write_b64 v186, v[8:9] offset:16464
	s_waitcnt vmcnt(28)
	v_mul_f32_e32 v8, v15, v37
	v_mul_f32_e32 v9, v14, v37
	v_add_u32_e32 v5, s2, v5
	v_accvgpr_write_b32 a98, v46
	v_fmac_f32_e32 v8, v14, v36
	v_fma_f32 v9, v15, v36, -v9
	global_load_dwordx2 v[14:15], v[4:5], off
	global_load_dwordx2 v[46:47], v186, s[8:9] offset:3528
	v_mad_u64_u32 v[4:5], s[6:7], s12, v52, v[4:5]
	ds_write2_b64 v186, v[12:13], v[8:9] offset1:49
	v_add_u32_e32 v5, s2, v5
	global_load_dwordx2 v[94:95], v186, s[8:9] offset:3920
	v_accvgpr_write_b32 a91, v45
	v_accvgpr_write_b32 a90, v44
	s_waitcnt vmcnt(26)
	v_mul_f32_e32 v8, v27, v85
	v_mul_f32_e32 v9, v26, v85
	v_accvgpr_write_b32 a87, v85
	v_fmac_f32_e32 v8, v26, v84
	v_fma_f32 v9, v27, v84, -v9
	v_accvgpr_write_b32 a86, v84
	global_load_dwordx2 v[90:91], v[2:3], off offset:2176
	global_load_dwordx2 v[84:85], v[2:3], off offset:2568
	;; [unrolled: 1-line block ×3, first 2 shown]
	global_load_dwordx2 v[18:19], v[4:5], off
	v_mad_u64_u32 v[4:5], s[6:7], s12, v52, v[4:5]
	v_add_u32_e32 v5, s2, v5
	s_waitcnt vmcnt(28)
	v_mul_f32_e32 v2, v29, v97
	v_mul_f32_e32 v3, v28, v97
	v_accvgpr_write_b32 a84, v96
	s_waitcnt vmcnt(26)
	v_mul_f32_e32 v12, v31, v83
	v_mul_f32_e32 v13, v30, v83
	v_accvgpr_write_b32 a82, v82
	v_fmac_f32_e32 v2, v28, v96
	v_fma_f32 v3, v29, v96, -v3
	v_accvgpr_write_b32 a85, v97
	s_waitcnt vmcnt(22)
	v_mul_f32_e32 v20, v23, v51
	v_mul_f32_e32 v21, v22, v51
	v_fmac_f32_e32 v20, v22, v50
	v_fma_f32 v21, v23, v50, -v21
	global_load_dwordx2 v[22:23], v[4:5], off
	global_load_dwordx2 v[108:109], v[0:1], off offset:824
	v_mad_u64_u32 v[4:5], s[6:7], s12, v52, v[4:5]
	v_add_u32_e32 v5, s2, v5
	v_fmac_f32_e32 v12, v30, v82
	v_fma_f32 v13, v31, v82, -v13
	v_accvgpr_write_b32 a83, v83
	global_load_dwordx2 v[26:27], v[4:5], off
	global_load_dwordx2 v[106:107], v[98:99], off offset:864
	global_load_dwordx2 v[96:97], v[98:99], off offset:1256
	;; [unrolled: 1-line block ×3, first 2 shown]
	v_mad_u64_u32 v[4:5], s[6:7], s12, v52, v[4:5]
	v_add_u32_e32 v5, s2, v5
	global_load_dwordx2 v[30:31], v[4:5], off
	v_mad_u64_u32 v[4:5], s[6:7], s12, v52, v[4:5]
	v_mul_f32_e32 v16, v33, v81
	v_mul_f32_e32 v17, v32, v81
	v_add_u32_e32 v5, s2, v5
	v_fmac_f32_e32 v16, v32, v80
	v_fma_f32 v17, v33, v80, -v17
	global_load_dwordx2 v[32:33], v[4:5], off
	v_mad_u64_u32 v[4:5], s[6:7], s12, v48, v[4:5]
	v_add_u32_e32 v5, s3, v5
	v_mov_b64_e32 v[44:45], v[34:35]
	global_load_dwordx2 v[34:35], v[4:5], off
	v_mad_u64_u32 v[4:5], s[6:7], s12, v52, v[4:5]
	v_accvgpr_write_b32 a89, v37
	v_add_u32_e32 v5, s2, v5
	v_accvgpr_write_b32 a88, v36
	global_load_dwordx2 v[36:37], v[4:5], off
	v_mad_u64_u32 v[4:5], s[6:7], s12, v52, v[4:5]
	v_accvgpr_write_b32 a101, v39
	v_add_u32_e32 v5, s2, v5
	v_accvgpr_write_b32 a100, v38
	global_load_dwordx2 v[38:39], v[4:5], off
	s_waitcnt vmcnt(26)
	v_mul_f32_e32 v28, v25, v41
	v_mad_u64_u32 v[4:5], s[6:7], s12, v52, v[4:5]
	v_fmac_f32_e32 v28, v24, v40
	v_mul_f32_e32 v24, v24, v41
	v_accvgpr_write_b32 a79, v41
	v_add_u32_e32 v5, s2, v5
	v_fma_f32 v29, v25, v40, -v24
	v_accvgpr_write_b32 a78, v40
	global_load_dwordx2 v[40:41], v[4:5], off
	global_load_dwordx2 v[104:105], v[0:1], off offset:1216
	v_mad_u64_u32 v[4:5], s[6:7], s12, v52, v[4:5]
	v_accvgpr_write_b32 a95, v43
	v_add_u32_e32 v5, s2, v5
	v_accvgpr_write_b32 a94, v42
	s_waitcnt vmcnt(25)
	v_mul_f32_e32 v24, v11, v45
	global_load_dwordx2 v[42:43], v[4:5], off
	global_load_dwordx2 v[98:99], v[0:1], off offset:3960
	v_mad_u64_u32 v[4:5], s[6:7], s12, v52, v[4:5]
	v_fmac_f32_e32 v24, v10, v44
	v_mul_f32_e32 v10, v10, v45
	v_accvgpr_write_b32 a181, v45
	v_add_u32_e32 v5, s2, v5
	v_fma_f32 v25, v11, v44, -v10
	v_accvgpr_write_b32 a180, v44
	global_load_dwordx2 v[44:45], v[4:5], off
	v_mad_u64_u32 v[4:5], s[6:7], s12, v52, v[4:5]
	v_accvgpr_write_b32 a80, v80
	s_waitcnt vmcnt(21)
	v_mul_f32_e32 v10, v15, v47
	v_add_u32_e32 v5, s2, v5
	v_accvgpr_write_b32 a81, v81
	v_fmac_f32_e32 v10, v14, v46
	v_mul_f32_e32 v11, v14, v47
	v_mov_b64_e32 v[80:81], v[46:47]
	global_load_dwordx2 v[46:47], v[4:5], off
	v_mad_u64_u32 v[4:5], s[6:7], s12, v48, v[4:5]
	v_add_u32_e32 v5, s3, v5
	global_load_dwordx2 v[48:49], v[4:5], off
	v_mad_u64_u32 v[4:5], s[6:7], s12, v52, v[4:5]
	v_accvgpr_write_b32 a77, v51
	v_add_u32_e32 v5, s2, v5
	v_accvgpr_write_b32 a76, v50
	global_load_dwordx2 v[50:51], v[4:5], off
	v_fma_f32 v11, v15, v80, -v11
	v_add_u32_e32 v14, 0x800, v186
	ds_write2_b64 v14, v[8:9], v[10:11] offset0:136 offset1:185
	s_waitcnt vmcnt(19)
	v_mul_f32_e32 v8, v19, v91
	v_mul_f32_e32 v9, v18, v91
	v_fmac_f32_e32 v8, v18, v90
	v_fma_f32 v9, v19, v90, -v9
	v_add_u32_e32 v10, 0x1400, v186
	ds_write2_b64 v10, v[2:3], v[8:9] offset0:95 offset1:144
	v_mad_u64_u32 v[2:3], s[6:7], s12, v52, v[4:5]
	v_accvgpr_write_b32 a74, v80
	v_accvgpr_write_b32 a72, v90
	v_add_u32_e32 v3, s2, v3
	v_accvgpr_write_b32 a75, v81
	v_accvgpr_write_b32 a73, v91
	global_load_dwordx2 v[4:5], v[2:3], off
	global_load_dwordx2 v[90:91], v[0:1], off offset:1608
	global_load_dwordx2 v[80:81], v[0:1], off offset:2000
	s_waitcnt vmcnt(20)
	v_mul_f32_e32 v0, v23, v109
	v_mul_f32_e32 v1, v22, v109
	v_fmac_f32_e32 v0, v22, v108
	v_fma_f32 v1, v23, v108, -v1
	v_add_u32_e32 v8, 0x2000, v186
	v_accvgpr_write_b32 a70, v108
	ds_write2_b64 v8, v[12:13], v[0:1] offset0:54 offset1:103
	s_waitcnt vmcnt(19)
	v_mul_f32_e32 v0, v27, v101
	v_mul_f32_e32 v1, v26, v101
	v_accvgpr_write_b32 a71, v109
	v_mov_b32_e32 v108, v8
	v_fmac_f32_e32 v0, v26, v100
	v_fma_f32 v1, v27, v100, -v1
	v_add_u32_e32 v8, 0x2800, v186
	v_accvgpr_write_b32 a68, v100
	ds_write2_b64 v8, v[16:17], v[0:1] offset0:141 offset1:190
	s_waitcnt vmcnt(15)
	v_mul_f32_e32 v0, v31, v103
	v_mul_f32_e32 v1, v30, v103
	v_accvgpr_write_b32 a69, v101
	v_mov_b32_e32 v100, v8
	v_fmac_f32_e32 v0, v30, v102
	v_fma_f32 v1, v31, v102, -v1
	v_add_u32_e32 v8, 0x3400, v186
	ds_write2_b64 v8, v[20:21], v[0:1] offset0:100 offset1:149
	s_waitcnt vmcnt(14)
	v_mul_f32_e32 v0, v33, v107
	v_mul_f32_e32 v1, v32, v107
	v_fmac_f32_e32 v0, v32, v106
	v_fma_f32 v1, v33, v106, -v1
	ds_write2_b64 v185, v[28:29], v[0:1] offset0:59 offset1:108
	s_waitcnt vmcnt(13)
	v_mul_f32_e32 v0, v35, v69
	v_mul_f32_e32 v1, v34, v69
	v_fmac_f32_e32 v0, v34, v68
	v_fma_f32 v1, v35, v68, -v1
	v_mad_u64_u32 v[2:3], s[6:7], s12, v52, v[2:3]
	v_mov_b32_e32 v101, v8
	v_accvgpr_write_b32 a62, v68
	ds_write2_b64 v186, v[24:25], v[0:1] offset0:98 offset1:147
	s_waitcnt vmcnt(12)
	v_mul_f32_e32 v0, v37, v95
	v_mul_f32_e32 v1, v36, v95
	v_accvgpr_write_b32 a60, v94
	s_waitcnt vmcnt(11)
	v_mul_f32_e32 v8, v39, v85
	v_mul_f32_e32 v9, v38, v85
	v_accvgpr_write_b32 a58, v84
	v_add_u32_e32 v3, s2, v3
	v_accvgpr_write_b32 a63, v69
	v_fmac_f32_e32 v0, v36, v94
	v_fma_f32 v1, v37, v94, -v1
	v_accvgpr_write_b32 a61, v95
	v_fmac_f32_e32 v8, v38, v84
	v_fma_f32 v9, v39, v84, -v9
	v_accvgpr_write_b32 a59, v85
	global_load_dwordx2 v[94:95], v[6:7], off offset:256
	global_load_dwordx2 v[84:85], v[6:7], off offset:648
	;; [unrolled: 1-line block ×3, first 2 shown]
	global_load_dwordx2 v[12:13], v[2:3], off
	v_mad_u64_u32 v[2:3], s[6:7], s12, v52, v[2:3]
	v_add_u32_e32 v24, 0xc00, v186
	v_add_u32_e32 v3, s2, v3
	v_accvgpr_write_b32 a206, v10
	s_waitcnt vmcnt(13)
	v_mul_f32_e32 v10, v41, v105
	global_load_dwordx2 v[22:23], v[2:3], off
	v_mov_b32_e32 v53, v14
	s_waitcnt vmcnt(8)
	v_mul_f32_e32 v20, v51, v79
	v_mul_f32_e32 v21, v50, v79
	v_fmac_f32_e32 v20, v50, v78
	v_fma_f32 v21, v51, v78, -v21
	ds_write2_b64 v24, v[0:1], v[20:21] offset0:106 offset1:155
	v_mov_b32_e32 v21, 0xab8
	v_mad_u64_u32 v[0:1], s[6:7], s12, v21, v[2:3]
	v_add_u32_e32 v1, s2, v1
	global_load_dwordx2 v[2:3], v[0:1], off
	v_mad_u64_u32 v[0:1], s[6:7], s12, v21, v[0:1]
	v_fmac_f32_e32 v10, v40, v104
	v_mul_f32_e32 v11, v40, v105
	v_mul_f32_e32 v14, v45, v89
	;; [unrolled: 1-line block ×3, first 2 shown]
	v_accvgpr_write_b32 a52, v88
	v_add_u32_e32 v1, s2, v1
	v_mov_b32_e32 v40, 0xffffc138
	v_fmac_f32_e32 v14, v44, v88
	v_fma_f32 v15, v45, v88, -v15
	v_accvgpr_write_b32 a53, v89
	v_mov_b32_e32 v88, v24
	global_load_dwordx2 v[24:25], v[0:1], off
	v_mad_u64_u32 v[0:1], s[6:7], s12, v40, v[0:1]
	v_add_u32_e32 v1, s3, v1
	global_load_dwordx2 v[26:27], v[0:1], off
	v_mad_u64_u32 v[0:1], s[6:7], s12, v21, v[0:1]
	v_add_u32_e32 v1, s2, v1
	;; [unrolled: 3-line block ×6, first 2 shown]
	global_load_dwordx2 v[36:37], v[0:1], off
	v_mad_u64_u32 v[0:1], s[6:7], s12, v21, v[0:1]
	v_mul_f32_e32 v18, v49, v67
	v_mul_f32_e32 v19, v48, v67
	v_add_u32_e32 v1, s2, v1
	v_mul_f32_e32 v16, v47, v97
	v_fmac_f32_e32 v18, v48, v66
	v_fma_f32 v19, v49, v66, -v19
	global_load_dwordx2 v[38:39], v[0:1], off
	global_load_dwordx2 v[48:49], v[110:111], off offset:2040
	v_mad_u64_u32 v[0:1], s[6:7], s12, v40, v[0:1]
	v_fmac_f32_e32 v16, v46, v96
	v_mul_f32_e32 v17, v46, v97
	v_mov_b32_e32 v46, 0xab8
	v_add_u32_e32 v1, s3, v1
	v_fma_f32 v11, v41, v104, -v11
	s_waitcnt vmcnt(17)
	v_mul_f32_e32 v20, v5, v87
	global_load_dwordx2 v[40:41], v[0:1], off
	v_mad_u64_u32 v[0:1], s[6:7], s12, v46, v[0:1]
	v_fmac_f32_e32 v20, v4, v86
	v_mul_f32_e32 v4, v4, v87
	v_add_u32_e32 v1, s2, v1
	v_fma_f32 v21, v5, v86, -v4
	global_load_dwordx2 v[4:5], v[0:1], off
	v_mul_f32_e32 v6, v43, v99
	v_mad_u64_u32 v[0:1], s[6:7], s12, v46, v[0:1]
	v_fmac_f32_e32 v6, v42, v98
	v_mul_f32_e32 v7, v42, v99
	v_add_u32_e32 v42, 0x1800, v186
	v_add_u32_e32 v1, s2, v1
	ds_write2_b64 v42, v[8:9], v[20:21] offset0:65 offset1:114
	global_load_dwordx2 v[8:9], v[0:1], off
	v_mad_u64_u32 v[0:1], s[6:7], s12, v46, v[0:1]
	v_accvgpr_write_b32 a42, v66
	v_add_u32_e32 v1, s2, v1
	v_fma_f32 v7, v43, v98, -v7
	v_accvgpr_write_b32 a43, v67
	v_mov_b32_e32 v66, v42
	global_load_dwordx2 v[42:43], v[0:1], off
	v_mad_u64_u32 v[0:1], s[6:7], s12, v46, v[0:1]
	s_waitcnt vmcnt(15)
	v_mul_f32_e32 v20, v13, v91
	v_add_u32_e32 v1, s2, v1
	v_fmac_f32_e32 v20, v12, v90
	v_mul_f32_e32 v12, v12, v91
	global_load_dwordx2 v[44:45], v[0:1], off
	v_mad_u64_u32 v[0:1], s[6:7], s12, v46, v[0:1]
	v_fma_f32 v21, v13, v90, -v12
	v_mov_b32_e32 v12, 0xab8
	v_add_u32_e32 v1, s2, v1
	ds_write2_b64 v108, v[10:11], v[20:21] offset0:152 offset1:201
	global_load_dwordx2 v[10:11], v[0:1], off
	v_mad_u64_u32 v[0:1], s[6:7], s12, v12, v[0:1]
	v_add_u32_e32 v1, s2, v1
	v_fma_f32 v17, v47, v96, -v17
	global_load_dwordx2 v[0:1], v[0:1], off
	s_nop 0
	global_load_dwordx2 v[46:47], v[110:111], off offset:2432
	s_waitcnt vmcnt(18)
	v_mul_f32_e32 v12, v23, v95
	v_mul_f32_e32 v13, v22, v95
	v_fmac_f32_e32 v12, v22, v94
	v_fma_f32 v13, v23, v94, -v13
	v_add_u32_e32 v20, 0x2c00, v186
	ds_write2_b64 v20, v[6:7], v[12:13] offset0:111 offset1:160
	s_waitcnt vmcnt(17)
	v_mul_f32_e32 v6, v3, v77
	v_fmac_f32_e32 v6, v2, v76
	v_mul_f32_e32 v2, v2, v77
	v_fma_f32 v7, v3, v76, -v2
	v_add_u32_e32 v2, 0x3800, v186
	ds_write2_b64 v2, v[14:15], v[6:7] offset0:70 offset1:119
	v_mov_b32_e32 v22, v2
	s_waitcnt vmcnt(16)
	v_mul_f32_e32 v2, v25, v83
	v_mul_f32_e32 v3, v24, v83
	v_accvgpr_write_b32 a220, v20
	v_fmac_f32_e32 v2, v24, v82
	v_fma_f32 v3, v25, v82, -v3
	ds_write2_b64 v185, v[16:17], v[2:3] offset0:157 offset1:206
	s_waitcnt vmcnt(15)
	v_mul_f32_e32 v2, v27, v65
	v_mul_f32_e32 v3, v26, v65
	v_fmac_f32_e32 v2, v26, v64
	v_fma_f32 v3, v27, v64, -v3
	ds_write2_b64 v186, v[18:19], v[2:3] offset0:196 offset1:245
	s_waitcnt vmcnt(14)
	v_mul_f32_e32 v2, v29, v73
	v_mul_f32_e32 v3, v28, v73
	v_fmac_f32_e32 v2, v28, v72
	v_fma_f32 v3, v29, v72, -v3
	s_waitcnt vmcnt(13)
	v_mul_f32_e32 v6, v31, v75
	v_mul_f32_e32 v7, v30, v75
	v_fmac_f32_e32 v6, v30, v74
	v_fma_f32 v7, v31, v74, -v7
	;; [unrolled: 5-line block ×4, first 2 shown]
	ds_write_b64 v186, v[20:21] offset:2352
	v_mul_f32_e32 v14, v35, v85
	v_mul_f32_e32 v15, v34, v85
	s_waitcnt vmcnt(6)
	v_mul_f32_e32 v20, v5, v57
	v_fmac_f32_e32 v20, v4, v56
	v_mul_f32_e32 v4, v4, v57
	v_fma_f32 v21, v5, v56, -v4
	v_add_u32_e32 v4, 0x1000, v186
	ds_write2_b64 v4, v[2:3], v[20:21] offset0:76 offset1:125
	v_mov_b32_e32 v20, v4
	v_add_u32_e32 v4, 0x2400, v186
	v_fmac_f32_e32 v14, v34, v84
	s_waitcnt vmcnt(5)
	v_mul_f32_e32 v2, v9, v59
	v_mul_f32_e32 v3, v8, v59
	v_fmac_f32_e32 v2, v8, v58
	v_fma_f32 v3, v9, v58, -v3
	ds_write2_b64 v66, v[6:7], v[2:3] offset0:163 offset1:212
	v_fma_f32 v15, v35, v84, -v15
	v_mov_b32_e32 v110, v4
	v_mul_f32_e32 v16, v37, v71
	s_waitcnt vmcnt(4)
	v_mul_f32_e32 v2, v43, v61
	v_mul_f32_e32 v3, v42, v61
	v_fmac_f32_e32 v2, v42, v60
	v_fma_f32 v3, v43, v60, -v3
	ds_write2_b64 v4, v[12:13], v[2:3] offset0:122 offset1:171
	v_add_u32_e32 v4, 0x3000, v186
	v_mul_f32_e32 v17, v36, v71
	s_waitcnt vmcnt(3)
	v_mul_f32_e32 v2, v45, v69
	v_mul_f32_e32 v3, v44, v69
	v_fmac_f32_e32 v2, v44, v68
	v_fma_f32 v3, v45, v68, -v3
	ds_write2_b64 v4, v[14:15], v[2:3] offset0:81 offset1:130
	v_fmac_f32_e32 v16, v36, v70
	v_fma_f32 v17, v37, v70, -v17
	s_waitcnt vmcnt(2)
	v_mul_f32_e32 v2, v11, v63
	v_mul_f32_e32 v3, v10, v63
	v_fmac_f32_e32 v2, v10, v62
	v_fma_f32 v3, v11, v62, -v3
	ds_write2_b64 v22, v[16:17], v[2:3] offset0:168 offset1:217
	s_waitcnt vmcnt(0)
	v_mul_f32_e32 v2, v1, v47
	v_mul_f32_e32 v18, v39, v49
	;; [unrolled: 1-line block ×3, first 2 shown]
	v_fmac_f32_e32 v2, v0, v46
	v_mul_f32_e32 v0, v0, v47
	v_fmac_f32_e32 v18, v38, v48
	v_fma_f32 v19, v39, v48, -v19
	v_accvgpr_write_b32 a219, v49
	v_fma_f32 v3, v1, v46, -v0
	v_add_u32_e32 v0, 0x4400, v186
	v_accvgpr_write_b32 a34, v82
	v_accvgpr_write_b32 a30, v72
	v_accvgpr_write_b32 a28, v74
	v_accvgpr_write_b32 a26, v80
	scratch_store_dwordx2 off, v[70:71], off offset:92 ; 8-byte Folded Spill
	v_accvgpr_write_b32 a218, v48
	scratch_store_dwordx2 off, v[56:57], off offset:76 ; 8-byte Folded Spill
	v_accvgpr_write_b32 a187, v59
	scratch_store_dwordx2 off, v[60:61], off offset:56 ; 8-byte Folded Spill
	scratch_store_dwordx2 off, v[68:69], off offset:48 ; 8-byte Folded Spill
	v_mov_b32_e32 v5, v4
	scratch_store_dwordx2 off, v[62:63], off offset:84 ; 8-byte Folded Spill
	scratch_store_dwordx2 off, v[46:47], off offset:68 ; 8-byte Folded Spill
	ds_write2_b64 v0, v[18:19], v[2:3] offset0:127 offset1:176
	s_waitcnt lgkmcnt(0)
	; wave barrier
	s_waitcnt lgkmcnt(0)
	ds_read2_b64 v[36:39], v186 offset1:49
	ds_read2_b64 v[0:3], v53 offset0:38 offset1:87
	ds_read2_b64 v[48:51], v20 offset0:174 offset1:223
	v_add_u32_e32 v4, 0x1c00, v186
	v_accvgpr_write_b32 a35, v83
	v_accvgpr_write_b32 a31, v73
	;; [unrolled: 1-line block ×5, first 2 shown]
	ds_read2_b64 v[8:11], v4 offset0:84 offset1:133
	v_mov_b32_e32 v149, v4
	ds_read2_b64 v[56:59], v100 offset0:92 offset1:141
	v_mov_b32_e32 v24, v5
	ds_read2_b64 v[4:7], v5 offset0:130 offset1:179
	ds_read2_b64 v[80:83], v185 offset0:10 offset1:59
	;; [unrolled: 1-line block ×3, first 2 shown]
	v_accvgpr_write_b32 a38, v78
	v_accvgpr_write_b32 a40, v76
	;; [unrolled: 1-line block ×10, first 2 shown]
	v_mov_b32_e32 v153, v20
	v_mov_b32_e32 v154, v53
	ds_read2_b64 v[52:55], v108 offset0:54 offset1:103
	ds_read2_b64 v[68:71], v101 offset0:100 offset1:149
	;; [unrolled: 1-line block ×3, first 2 shown]
	v_mov_b32_e32 v20, v66
	ds_read2_b64 v[60:63], v66 offset0:16 offset1:65
	ds_read2_b64 v[64:67], v100 offset0:190 offset1:239
	;; [unrolled: 1-line block ×4, first 2 shown]
	v_accvgpr_write_b32 a67, v103
	v_accvgpr_write_b32 a55, v99
	ds_read2_b64 v[32:35], v22 offset0:70 offset1:119
	s_waitcnt lgkmcnt(9)
	v_add_f32_e32 v99, v3, v81
	v_add_f32_e32 v102, v49, v7
	v_mov_b32_e32 v151, v101
	v_add_f32_e32 v98, v2, v80
	v_add_f32_e32 v103, v48, v6
	;; [unrolled: 1-line block ×4, first 2 shown]
	v_mov_b32_e32 v225, v100
	v_add_f32_e32 v100, v10, v56
	v_add_f32_e32 v40, v103, v98
	;; [unrolled: 1-line block ×3, first 2 shown]
	v_sub_f32_e32 v6, v48, v6
	v_sub_f32_e32 v48, v56, v10
	v_add_f32_e32 v125, v100, v40
	v_add_f32_e32 v89, v124, v37
	s_waitcnt lgkmcnt(7)
	v_add_f32_e32 v123, v53, v59
	v_sub_f32_e32 v2, v2, v80
	v_sub_f32_e32 v3, v3, v81
	;; [unrolled: 1-line block ×7, first 2 shown]
	v_mov_b32_e32 v250, v88
	v_add_f32_e32 v88, v125, v36
	v_add_f32_e32 v121, v73, v83
	s_waitcnt lgkmcnt(6)
	v_add_f32_e32 v126, v51, v69
	v_add_f32_e32 v122, v52, v58
	s_waitcnt lgkmcnt(2)
	v_add_f32_e32 v128, v74, v76
	v_add_f32_e32 v129, v75, v77
	;; [unrolled: 1-line block ×5, first 2 shown]
	s_waitcnt lgkmcnt(1)
	v_add_f32_e32 v139, v45, v79
	v_sub_f32_e32 v73, v73, v83
	v_sub_f32_e32 v69, v51, v69
	;; [unrolled: 1-line block ×9, first 2 shown]
	v_mov_b32_e32 v51, v89
	v_sub_f32_e32 v52, v100, v103
	v_sub_f32_e32 v45, v102, v99
	v_add_f32_e32 v10, v48, v6
	v_sub_f32_e32 v54, v6, v2
	v_add_f32_e32 v6, v49, v7
	v_sub_f32_e32 v55, v49, v7
	v_sub_f32_e32 v56, v7, v3
	v_mul_f32_e32 v61, 0xbf08b237, v11
	s_mov_b32 s2, 0x3f3bfb3b
	v_mul_f32_e32 v7, 0x3d64c772, v53
	s_mov_b32 s3, 0x3f5ff5aa
	v_add_f32_e32 v120, v72, v82
	v_add_f32_e32 v127, v50, v68
	;; [unrolled: 1-line block ×4, first 2 shown]
	s_waitcnt lgkmcnt(0)
	v_add_f32_e32 v140, v62, v32
	v_sub_f32_e32 v72, v72, v82
	v_sub_f32_e32 v68, v50, v68
	;; [unrolled: 1-line block ×5, first 2 shown]
	v_mov_b32_e32 v50, v88
	v_fmac_f32_e32 v51, 0xbf955555, v124
	v_sub_f32_e32 v44, v103, v98
	v_add_f32_e32 v57, v10, v2
	v_add_f32_e32 v60, v6, v3
	v_mul_f32_e32 v55, 0xbf08b237, v55
	v_mul_f32_e32 v6, 0x3d64c772, v52
	v_fma_f32 v7, v45, s2, -v7
	v_fma_f32 v62, v54, s3, -v61
	v_add_f32_e32 v141, v63, v33
	v_sub_f32_e32 v33, v63, v33
	v_fmac_f32_e32 v50, 0xbf955555, v125
	v_fma_f32 v6, v44, s2, -v6
	v_add_f32_e32 v11, v7, v51
	v_fmac_f32_e32 v62, 0x3ee1c552, v57
	v_fma_f32 v63, v56, s3, -v55
	v_add_f32_e32 v10, v6, v50
	v_fmac_f32_e32 v63, 0x3ee1c552, v60
	v_add_f32_e32 v7, v62, v11
	v_sub_f32_e32 v11, v11, v62
	v_sub_f32_e32 v62, v98, v100
	ds_read2_b64 v[28:31], v108 offset0:152 offset1:201
	v_sub_f32_e32 v6, v10, v63
	v_add_f32_e32 v10, v63, v10
	v_sub_f32_e32 v63, v99, v101
	v_sub_f32_e32 v3, v3, v49
	v_mul_f32_e32 v62, 0x3f4a47b2, v62
	v_add_f32_e32 v37, v126, v121
	v_sub_f32_e32 v2, v2, v48
	v_mul_f32_e32 v63, 0x3f4a47b2, v63
	v_mul_f32_e32 v54, 0xbf5ff5aa, v54
	v_fma_f32 v44, v44, s17, -v62
	v_fmac_f32_e32 v62, 0x3d64c772, v52
	v_fmac_f32_e32 v55, 0x3eae86e6, v3
	v_accvgpr_write_b32 a46, v90
	v_add_f32_e32 v36, v127, v120
	v_add_f32_e32 v133, v123, v37
	v_mul_f32_e32 v56, 0xbf5ff5aa, v56
	v_fma_f32 v45, v45, s17, -v63
	v_fmac_f32_e32 v54, 0xbeae86e6, v2
	v_fmac_f32_e32 v63, 0x3d64c772, v53
	;; [unrolled: 1-line block ×3, first 2 shown]
	v_add_f32_e32 v2, v62, v50
	v_fmac_f32_e32 v55, 0x3ee1c552, v60
	v_accvgpr_write_b32 a47, v91
	v_add_f32_e32 v132, v122, v36
	v_add_f32_e32 v91, v133, v39
	v_fmac_f32_e32 v56, 0xbeae86e6, v3
	v_add_f32_e32 v44, v44, v50
	v_add_f32_e32 v45, v45, v51
	v_fmac_f32_e32 v54, 0x3ee1c552, v57
	v_add_f32_e32 v3, v63, v51
	v_fmac_f32_e32 v61, 0x3ee1c552, v57
	v_add_f32_e32 v52, v2, v55
	v_sub_f32_e32 v50, v2, v55
	v_sub_f32_e32 v63, v123, v126
	;; [unrolled: 1-line block ×3, first 2 shown]
	v_add_f32_e32 v90, v132, v38
	v_fmac_f32_e32 v56, 0x3ee1c552, v60
	v_sub_f32_e32 v49, v45, v54
	v_add_f32_e32 v45, v54, v45
	v_sub_f32_e32 v53, v3, v61
	v_add_f32_e32 v51, v61, v3
	v_mov_b32_e32 v3, v91
	v_sub_f32_e32 v62, v122, v127
	v_sub_f32_e32 v61, v126, v121
	v_add_f32_e32 v54, v58, v68
	v_sub_f32_e32 v64, v68, v72
	v_sub_f32_e32 v57, v59, v69
	v_mul_f32_e32 v68, 0xbf08b237, v55
	v_mul_f32_e32 v55, 0x3d64c772, v63
	s_waitcnt lgkmcnt(0)
	v_add_f32_e32 v142, v28, v66
	v_sub_f32_e32 v28, v66, v28
	v_add_f32_e32 v48, v56, v44
	v_sub_f32_e32 v44, v44, v56
	v_mov_b32_e32 v2, v90
	v_fmac_f32_e32 v3, 0xbf955555, v133
	v_sub_f32_e32 v60, v127, v120
	v_add_f32_e32 v56, v59, v69
	v_sub_f32_e32 v65, v69, v73
	v_add_f32_e32 v66, v54, v72
	v_mul_f32_e32 v69, 0xbf08b237, v57
	v_mul_f32_e32 v54, 0x3d64c772, v62
	v_fma_f32 v55, v61, s2, -v55
	v_fma_f32 v78, v64, s3, -v68
	v_add_f32_e32 v143, v29, v67
	v_sub_f32_e32 v29, v67, v29
	v_fmac_f32_e32 v2, 0xbf955555, v132
	v_add_f32_e32 v67, v56, v73
	v_fma_f32 v54, v60, s2, -v54
	v_add_f32_e32 v57, v55, v3
	v_fmac_f32_e32 v78, 0x3ee1c552, v66
	v_fma_f32 v79, v65, s3, -v69
	v_add_f32_e32 v56, v54, v2
	v_fmac_f32_e32 v79, 0x3ee1c552, v67
	v_add_f32_e32 v55, v78, v57
	v_sub_f32_e32 v57, v57, v78
	v_sub_f32_e32 v78, v120, v122
	;; [unrolled: 1-line block ×3, first 2 shown]
	v_add_f32_e32 v56, v79, v56
	v_sub_f32_e32 v79, v121, v123
	v_sub_f32_e32 v72, v72, v58
	;; [unrolled: 1-line block ×3, first 2 shown]
	v_mul_f32_e32 v78, 0x3f4a47b2, v78
	v_mul_f32_e32 v58, 0xbf5ff5aa, v65
	v_add_f32_e32 v36, v134, v128
	v_add_f32_e32 v37, v135, v129
	v_mul_f32_e32 v79, 0x3f4a47b2, v79
	v_mul_f32_e32 v59, 0xbf5ff5aa, v64
	v_fma_f32 v60, v60, s17, -v78
	v_fmac_f32_e32 v58, 0xbeae86e6, v73
	v_fmac_f32_e32 v78, 0x3d64c772, v62
	;; [unrolled: 1-line block ×3, first 2 shown]
	v_accvgpr_write_b32 a44, v94
	v_add_f32_e32 v136, v130, v36
	v_add_f32_e32 v137, v131, v37
	v_fma_f32 v61, v61, s17, -v79
	v_fmac_f32_e32 v59, 0xbeae86e6, v72
	v_add_f32_e32 v64, v60, v2
	v_fmac_f32_e32 v58, 0x3ee1c552, v67
	v_fmac_f32_e32 v79, 0x3d64c772, v63
	;; [unrolled: 1-line block ×3, first 2 shown]
	v_add_f32_e32 v2, v78, v2
	v_fmac_f32_e32 v69, 0x3ee1c552, v67
	v_accvgpr_write_b32 a45, v95
	v_add_f32_e32 v94, v136, v12
	v_add_f32_e32 v95, v137, v13
	;; [unrolled: 1-line block ×3, first 2 shown]
	v_fmac_f32_e32 v59, 0x3ee1c552, v66
	v_add_f32_e32 v60, v58, v64
	v_sub_f32_e32 v58, v64, v58
	v_add_f32_e32 v3, v79, v3
	v_fmac_f32_e32 v68, 0x3ee1c552, v66
	v_add_f32_e32 v64, v2, v69
	v_sub_f32_e32 v62, v2, v69
	v_sub_f32_e32 v78, v130, v134
	;; [unrolled: 1-line block ×3, first 2 shown]
	v_add_f32_e32 v66, v76, v70
	v_sub_f32_e32 v67, v76, v70
	v_sub_f32_e32 v69, v77, v71
	;; [unrolled: 1-line block ×3, first 2 shown]
	v_add_f32_e32 v59, v59, v65
	v_sub_f32_e32 v65, v3, v68
	v_add_f32_e32 v63, v68, v3
	v_mov_b32_e32 v2, v94
	v_mov_b32_e32 v3, v95
	v_sub_f32_e32 v72, v134, v128
	v_sub_f32_e32 v73, v135, v129
	;; [unrolled: 1-line block ×3, first 2 shown]
	v_add_f32_e32 v68, v77, v71
	v_sub_f32_e32 v71, v71, v75
	v_add_f32_e32 v80, v66, v74
	v_mul_f32_e32 v98, 0xbf08b237, v67
	v_mul_f32_e32 v99, 0xbf08b237, v69
	;; [unrolled: 1-line block ×4, first 2 shown]
	v_fmac_f32_e32 v2, 0xbf955555, v136
	v_fmac_f32_e32 v3, 0xbf955555, v137
	v_add_f32_e32 v81, v68, v75
	v_fma_f32 v66, v72, s2, -v66
	v_fma_f32 v67, v73, s2, -v67
	;; [unrolled: 1-line block ×4, first 2 shown]
	v_add_f32_e32 v68, v66, v2
	v_add_f32_e32 v69, v67, v3
	v_fmac_f32_e32 v100, 0x3ee1c552, v80
	v_fmac_f32_e32 v101, 0x3ee1c552, v81
	v_sub_f32_e32 v66, v68, v101
	v_add_f32_e32 v67, v100, v69
	v_add_f32_e32 v68, v101, v68
	v_sub_f32_e32 v69, v69, v100
	v_sub_f32_e32 v100, v128, v130
	v_sub_f32_e32 v101, v129, v131
	v_sub_f32_e32 v74, v74, v76
	v_sub_f32_e32 v75, v75, v77
	v_mul_f32_e32 v76, 0x3f4a47b2, v100
	v_mul_f32_e32 v77, 0x3f4a47b2, v101
	v_mul_f32_e32 v100, 0xbf5ff5aa, v70
	v_mul_f32_e32 v70, 0xbf5ff5aa, v71
	v_add_f32_e32 v12, v140, v138
	v_add_f32_e32 v13, v141, v139
	v_fma_f32 v71, v72, s17, -v76
	v_fma_f32 v72, v73, s17, -v77
	v_fmac_f32_e32 v100, 0xbeae86e6, v74
	v_fmac_f32_e32 v70, 0xbeae86e6, v75
	v_accvgpr_write_b32 a50, v96
	v_add_f32_e32 v144, v142, v12
	v_add_f32_e32 v145, v143, v13
	;; [unrolled: 1-line block ×4, first 2 shown]
	v_fmac_f32_e32 v100, 0x3ee1c552, v80
	v_fmac_f32_e32 v70, 0x3ee1c552, v81
	;; [unrolled: 1-line block ×6, first 2 shown]
	v_accvgpr_write_b32 a51, v97
	v_accvgpr_write_b32 a36, v86
	v_accvgpr_write_b32 a24, v84
	v_add_f32_e32 v96, v144, v14
	v_add_f32_e32 v97, v145, v15
	;; [unrolled: 1-line block ×3, first 2 shown]
	v_sub_f32_e32 v73, v101, v100
	v_sub_f32_e32 v70, v71, v70
	v_add_f32_e32 v71, v100, v101
	v_add_f32_e32 v2, v76, v2
	;; [unrolled: 1-line block ×3, first 2 shown]
	v_fmac_f32_e32 v98, 0x3ee1c552, v80
	v_fmac_f32_e32 v99, 0x3ee1c552, v81
	v_sub_f32_e32 v100, v142, v140
	v_sub_f32_e32 v101, v143, v141
	v_add_f32_e32 v78, v28, v32
	v_sub_f32_e32 v79, v28, v32
	v_sub_f32_e32 v81, v29, v33
	v_accvgpr_write_b32 a37, v87
	v_accvgpr_write_b32 a25, v85
	v_mov_b32_e32 v224, v22
	ds_read2_b64 v[84:87], v186 offset0:196 offset1:245
	ds_read2_b64 v[16:19], v20 offset0:114 offset1:163
	v_mov_b32_e32 v184, v20
	ds_read2_b64 v[20:23], v24 offset0:32 offset1:81
	v_mov_b32_e32 v249, v24
	ds_read2_b64 v[24:27], v185 offset0:206 offset1:255
	v_add_f32_e32 v76, v2, v99
	v_sub_f32_e32 v77, v3, v98
	v_sub_f32_e32 v74, v2, v99
	v_add_f32_e32 v75, v98, v3
	v_mov_b32_e32 v2, v96
	v_mov_b32_e32 v3, v97
	v_sub_f32_e32 v98, v140, v138
	v_sub_f32_e32 v99, v141, v139
	;; [unrolled: 1-line block ×3, first 2 shown]
	v_add_f32_e32 v80, v29, v33
	v_sub_f32_e32 v33, v33, v83
	v_add_f32_e32 v102, v78, v82
	v_mul_f32_e32 v120, 0xbf08b237, v79
	v_mul_f32_e32 v121, 0xbf08b237, v81
	;; [unrolled: 1-line block ×4, first 2 shown]
	v_fmac_f32_e32 v2, 0xbf955555, v144
	v_fmac_f32_e32 v3, 0xbf955555, v145
	v_add_f32_e32 v103, v80, v83
	v_fma_f32 v78, v98, s2, -v78
	v_fma_f32 v79, v99, s2, -v79
	;; [unrolled: 1-line block ×4, first 2 shown]
	v_add_f32_e32 v80, v78, v2
	v_add_f32_e32 v81, v79, v3
	v_fmac_f32_e32 v122, 0x3ee1c552, v102
	v_fmac_f32_e32 v123, 0x3ee1c552, v103
	v_sub_f32_e32 v78, v80, v123
	v_add_f32_e32 v79, v122, v81
	v_add_f32_e32 v80, v123, v80
	v_sub_f32_e32 v81, v81, v122
	v_sub_f32_e32 v122, v138, v142
	;; [unrolled: 1-line block ×3, first 2 shown]
	v_accvgpr_write_b32 a64, v106
	v_accvgpr_write_b32 a56, v104
	v_sub_f32_e32 v28, v82, v28
	v_sub_f32_e32 v29, v83, v29
	v_mul_f32_e32 v122, 0x3f4a47b2, v122
	v_mul_f32_e32 v123, 0x3f4a47b2, v123
	v_accvgpr_write_b32 a65, v107
	v_accvgpr_write_b32 a57, v105
	s_waitcnt lgkmcnt(0)
	v_add_f32_e32 v104, v46, v24
	v_add_f32_e32 v106, v16, v34
	;; [unrolled: 1-line block ×3, first 2 shown]
	v_mul_f32_e32 v32, 0xbf5ff5aa, v32
	v_mul_f32_e32 v33, 0xbf5ff5aa, v33
	v_fma_f32 v82, v98, s17, -v122
	v_fma_f32 v83, v99, s17, -v123
	v_fmac_f32_e32 v122, 0x3d64c772, v100
	v_fmac_f32_e32 v123, 0x3d64c772, v101
	;; [unrolled: 1-line block ×4, first 2 shown]
	s_mov_b32 s6, 0
	v_add_f32_e32 v105, v47, v25
	v_add_f32_e32 v107, v17, v35
	;; [unrolled: 1-line block ×4, first 2 shown]
	v_fmac_f32_e32 v32, 0xbeae86e6, v28
	v_fmac_f32_e32 v33, 0xbeae86e6, v29
	v_add_f32_e32 v82, v82, v2
	v_add_f32_e32 v83, v83, v3
	;; [unrolled: 1-line block ×4, first 2 shown]
	v_fmac_f32_e32 v120, 0x3ee1c552, v102
	v_fmac_f32_e32 v121, 0x3ee1c552, v103
	v_mov_b32_e32 v147, s6
	s_mov_b64 s[6:7], 0x62
	v_sub_f32_e32 v20, v20, v30
	v_sub_f32_e32 v28, v104, v116
	;; [unrolled: 1-line block ×3, first 2 shown]
	v_add_f32_e32 v13, v107, v105
	v_add_f32_e32 v118, v116, v12
	v_fmac_f32_e32 v32, 0x3ee1c552, v102
	v_fmac_f32_e32 v33, 0x3ee1c552, v103
	v_add_f32_e32 v102, v2, v121
	v_sub_f32_e32 v103, v3, v120
	v_sub_f32_e32 v100, v2, v121
	v_add_f32_e32 v101, v120, v3
	v_sub_f32_e32 v2, v46, v24
	v_sub_f32_e32 v3, v47, v25
	;; [unrolled: 1-line block ×4, first 2 shown]
	v_lshl_add_u64 v[34:35], v[146:147], 0, s[6:7]
	v_sub_f32_e32 v21, v21, v31
	v_sub_f32_e32 v24, v106, v104
	;; [unrolled: 1-line block ×4, first 2 shown]
	v_mul_f32_e32 v28, 0x3f4a47b2, v28
	v_mul_f32_e32 v47, 0x3d64c772, v30
	v_add_f32_e32 v119, v117, v13
	v_add_f32_e32 v84, v118, v84
	ds_read2_b64 v[40:43], v153 offset0:76 offset1:125
	ds_read2_b64 v[36:39], v224 offset0:168 offset1:217
	v_add_f32_e32 v98, v33, v82
	v_sub_f32_e32 v99, v83, v32
	v_sub_f32_e32 v82, v82, v33
	v_add_f32_e32 v83, v32, v83
	v_sub_f32_e32 v25, v107, v105
	v_add_f32_e32 v32, v20, v16
	v_add_f32_e32 v33, v21, v17
	v_sub_f32_e32 v35, v20, v16
	v_sub_f32_e32 v16, v16, v2
	v_mul_f32_e32 v29, 0x3f4a47b2, v29
	v_fma_f32 v47, v24, s2, -v47
	v_fma_f32 v24, v24, s17, -v28
	v_fmac_f32_e32 v28, 0x3d64c772, v30
	v_mul_f32_e32 v30, 0x3d64c772, v31
	v_add_f32_e32 v85, v119, v85
	ds_read2_b64 v[12:15], v110 offset0:122 offset1:171
	v_sub_f32_e32 v20, v2, v20
	v_add_f32_e32 v2, v32, v2
	v_sub_f32_e32 v32, v21, v17
	v_sub_f32_e32 v21, v3, v21
	;; [unrolled: 1-line block ×3, first 2 shown]
	v_add_f32_e32 v3, v33, v3
	v_mov_b32_e32 v33, v84
	v_mul_f32_e32 v35, 0xbf08b237, v35
	v_fma_f32 v30, v25, s2, -v30
	v_fma_f32 v25, v25, s17, -v29
	v_fmac_f32_e32 v29, 0x3d64c772, v31
	v_mul_f32_e32 v31, 0xbf5ff5aa, v16
	s_mov_b64 s[6:7], 0x93
	v_fmac_f32_e32 v33, 0xbf955555, v118
	v_mov_b32_e32 v46, v85
	v_mul_f32_e32 v116, 0xbf08b237, v32
	v_fma_f32 v104, v16, s3, -v35
	v_fmac_f32_e32 v35, 0x3eae86e6, v20
	v_fmac_f32_e32 v31, 0xbeae86e6, v20
	v_mul_f32_e32 v20, 0xbf5ff5aa, v17
	v_fmac_f32_e32 v46, 0xbf955555, v119
	v_fma_f32 v105, v17, s3, -v116
	v_fmac_f32_e32 v116, 0x3eae86e6, v21
	v_fmac_f32_e32 v20, 0xbeae86e6, v21
	v_add_f32_e32 v28, v28, v33
	v_add_f32_e32 v21, v47, v33
	;; [unrolled: 1-line block ×3, first 2 shown]
	v_lshl_add_u64 v[32:33], v[146:147], 0, s[6:7]
	s_mov_b64 s[6:7], 0xc4
	v_add_f32_e32 v30, v30, v46
	v_add_f32_e32 v33, v25, v46
	v_fmac_f32_e32 v104, 0x3ee1c552, v2
	v_fmac_f32_e32 v105, 0x3ee1c552, v3
	;; [unrolled: 1-line block ×3, first 2 shown]
	v_mov_b32_e32 v152, v108
	s_waitcnt lgkmcnt(2)
	v_add_f32_e32 v108, v40, v26
	s_waitcnt lgkmcnt(1)
	v_add_f32_e32 v109, v18, v36
	v_sub_f32_e32 v16, v21, v105
	v_add_f32_e32 v17, v104, v30
	v_add_f32_e32 v24, v105, v21
	v_sub_f32_e32 v25, v30, v104
	v_sub_f32_e32 v105, v33, v31
	v_add_f32_e32 v21, v31, v33
	v_lshl_add_u64 v[30:31], v[146:147], 0, s[6:7]
	s_mov_b64 s[6:7], 0xf5
	v_mov_b32_e32 v150, v110
	s_waitcnt lgkmcnt(0)
	v_add_f32_e32 v110, v12, v22
	v_add_f32_e32 v111, v109, v108
	;; [unrolled: 1-line block ×4, first 2 shown]
	v_fmac_f32_e32 v35, 0x3ee1c552, v2
	v_fmac_f32_e32 v116, 0x3ee1c552, v3
	;; [unrolled: 1-line block ×3, first 2 shown]
	v_sub_f32_e32 v2, v40, v26
	v_sub_f32_e32 v3, v41, v27
	v_lshl_add_u64 v[26:27], v[146:147], 0, s[6:7]
	s_mov_b64 s[6:7], 0x126
	v_add_f32_e32 v111, v110, v111
	v_add_f32_e32 v113, v19, v37
	;; [unrolled: 1-line block ×4, first 2 shown]
	v_sub_f32_e32 v20, v47, v20
	v_add_f32_e32 v106, v28, v116
	v_sub_f32_e32 v107, v29, v35
	v_sub_f32_e32 v46, v28, v116
	v_add_f32_e32 v47, v35, v29
	v_sub_f32_e32 v18, v18, v36
	v_sub_f32_e32 v19, v19, v37
	v_lshl_add_u64 v[28:29], v[146:147], 0, s[6:7]
	v_sub_f32_e32 v12, v22, v12
	v_sub_f32_e32 v13, v23, v13
	v_add_f32_e32 v86, v111, v86
	v_sub_f32_e32 v27, v108, v110
	v_sub_f32_e32 v29, v114, v115
	;; [unrolled: 1-line block ×3, first 2 shown]
	v_add_f32_e32 v35, v12, v18
	v_add_f32_e32 v36, v13, v19
	v_sub_f32_e32 v22, v109, v108
	v_sub_f32_e32 v37, v12, v18
	;; [unrolled: 1-line block ×4, first 2 shown]
	v_add_f32_e32 v35, v35, v2
	v_sub_f32_e32 v2, v13, v19
	v_sub_f32_e32 v13, v3, v13
	;; [unrolled: 1-line block ×3, first 2 shown]
	v_add_f32_e32 v36, v36, v3
	v_mul_f32_e32 v3, 0x3f4a47b2, v27
	v_mul_f32_e32 v27, 0x3f4a47b2, v29
	v_mov_b32_e32 v29, v86
	v_mul_f32_e32 v41, 0x3d64c772, v31
	v_add_f32_e32 v112, v113, v114
	v_fmac_f32_e32 v29, 0xbf955555, v111
	v_fma_f32 v41, v22, s2, -v41
	v_fma_f32 v22, v22, s17, -v3
	v_fmac_f32_e32 v3, 0x3d64c772, v31
	v_add_f32_e32 v112, v115, v112
	v_sub_f32_e32 v33, v115, v113
	v_mul_f32_e32 v110, 0xbf08b237, v2
	v_add_f32_e32 v111, v3, v29
	ds_read_b64 v[2:3], v186 offset:18816
	v_add_f32_e32 v87, v112, v87
	v_sub_f32_e32 v23, v113, v114
	v_mul_f32_e32 v31, 0x3d64c772, v33
	v_mov_b32_e32 v40, v87
	v_mul_f32_e32 v37, 0xbf08b237, v37
	v_fma_f32 v31, v23, s2, -v31
	v_fma_f32 v23, v23, s17, -v27
	v_fmac_f32_e32 v27, 0x3d64c772, v33
	v_mul_f32_e32 v33, 0xbf5ff5aa, v18
	v_fmac_f32_e32 v40, 0xbf955555, v112
	v_fma_f32 v18, v18, s3, -v37
	v_fmac_f32_e32 v37, 0x3eae86e6, v12
	v_fmac_f32_e32 v33, 0xbeae86e6, v12
	v_mul_f32_e32 v108, 0xbf5ff5aa, v19
	v_fma_f32 v19, v19, s3, -v110
	v_fmac_f32_e32 v108, 0xbeae86e6, v13
	v_add_f32_e32 v41, v41, v29
	v_add_f32_e32 v27, v27, v40
	;; [unrolled: 1-line block ×4, first 2 shown]
	v_fmac_f32_e32 v37, 0x3ee1c552, v35
	v_fmac_f32_e32 v18, 0x3ee1c552, v35
	;; [unrolled: 1-line block ×5, first 2 shown]
	v_add_f32_e32 v29, v22, v29
	v_fmac_f32_e32 v108, 0x3ee1c552, v36
	v_sub_f32_e32 v12, v41, v19
	v_add_f32_e32 v13, v18, v31
	v_add_f32_e32 v22, v19, v41
	v_sub_f32_e32 v23, v31, v18
	v_sub_f32_e32 v41, v109, v33
	v_add_f32_e32 v19, v33, v109
	v_sub_f32_e32 v109, v27, v37
	v_add_f32_e32 v37, v37, v27
	s_waitcnt lgkmcnt(0)
	v_add_f32_e32 v27, v42, v2
	v_add_f32_e32 v31, v8, v38
	;; [unrolled: 1-line block ×3, first 2 shown]
	v_sub_f32_e32 v18, v29, v108
	v_add_f32_e32 v29, v43, v3
	v_add_f32_e32 v33, v9, v39
	;; [unrolled: 1-line block ×3, first 2 shown]
	v_sub_f32_e32 v4, v4, v14
	v_add_f32_e32 v14, v31, v27
	v_sub_f32_e32 v8, v8, v38
	v_add_f32_e32 v38, v15, v5
	;; [unrolled: 2-line block ×3, first 2 shown]
	v_add_f32_e32 v14, v35, v14
	v_fmac_f32_e32 v110, 0x3ee1c552, v36
	v_sub_f32_e32 v9, v9, v39
	v_add_f32_e32 v15, v38, v15
	v_add_f32_e32 v0, v14, v0
	v_add_f32_e32 v108, v111, v110
	v_sub_f32_e32 v36, v111, v110
	v_sub_f32_e32 v2, v42, v2
	v_sub_f32_e32 v3, v43, v3
	v_sub_f32_e32 v39, v31, v27
	v_sub_f32_e32 v42, v33, v29
	v_sub_f32_e32 v27, v27, v35
	v_sub_f32_e32 v31, v35, v31
	v_sub_f32_e32 v33, v38, v33
	v_add_f32_e32 v110, v5, v9
	v_sub_f32_e32 v112, v5, v9
	v_add_f32_e32 v1, v15, v1
	v_mov_b32_e32 v113, v0
	v_sub_f32_e32 v29, v29, v38
	v_add_f32_e32 v43, v4, v8
	v_sub_f32_e32 v111, v4, v8
	v_sub_f32_e32 v5, v3, v5
	;; [unrolled: 1-line block ×4, first 2 shown]
	v_add_f32_e32 v3, v110, v3
	v_mul_f32_e32 v27, 0x3f4a47b2, v27
	v_mul_f32_e32 v35, 0x3d64c772, v31
	;; [unrolled: 1-line block ×4, first 2 shown]
	v_fmac_f32_e32 v113, 0xbf955555, v14
	v_mov_b32_e32 v14, v1
	v_sub_f32_e32 v4, v2, v4
	v_add_f32_e32 v2, v43, v2
	v_mul_f32_e32 v29, 0x3f4a47b2, v29
	v_mul_f32_e32 v43, 0xbf08b237, v111
	;; [unrolled: 1-line block ×3, first 2 shown]
	v_fmac_f32_e32 v14, 0xbf955555, v15
	v_fma_f32 v15, v39, s2, -v35
	v_fma_f32 v35, v42, s2, -v38
	;; [unrolled: 1-line block ×3, first 2 shown]
	v_fmac_f32_e32 v27, 0x3d64c772, v31
	v_fma_f32 v39, v9, s3, -v110
	v_fmac_f32_e32 v110, 0x3eae86e6, v5
	v_fma_f32 v31, v42, s17, -v29
	;; [unrolled: 2-line block ×3, first 2 shown]
	v_fmac_f32_e32 v43, 0x3eae86e6, v4
	v_fmac_f32_e32 v111, 0xbeae86e6, v4
	v_add_f32_e32 v27, v27, v113
	v_fmac_f32_e32 v110, 0x3ee1c552, v3
	v_fmac_f32_e32 v43, 0x3ee1c552, v2
	;; [unrolled: 1-line block ×4, first 2 shown]
	v_add_f32_e32 v2, v27, v110
	v_sub_f32_e32 v42, v27, v110
	v_mul_lo_u16_e32 v27, 7, v146
	v_lshl_add_u64 v[120:121], v[146:147], 0, 49
	v_lshlrev_b32_e32 v27, 3, v27
	s_waitcnt lgkmcnt(0)
	; wave barrier
	scratch_store_dword off, v27, off offset:20 ; 4-byte Folded Spill
	ds_write_b64 v27, v[88:89]
	ds_write2_b64 v27, v[52:53], v[48:49] offset0:1 offset1:2
	ds_write2_b64 v27, v[6:7], v[10:11] offset0:3 offset1:4
	ds_write2_b64 v27, v[44:45], v[50:51] offset0:5 offset1:6
	v_mul_u32_u24_e32 v6, 7, v120
	v_lshlrev_b32_e32 v6, 3, v6
	scratch_store_dword off, v6, off offset:16 ; 4-byte Folded Spill
	ds_write_b64 v6, v[90:91]
	ds_write2_b64 v6, v[64:65], v[60:61] offset0:1 offset1:2
	ds_write2_b64 v6, v[54:55], v[56:57] offset0:3 offset1:4
	ds_write2_b64 v6, v[58:59], v[62:63] offset0:5 offset1:6
	v_mul_u32_u24_e32 v6, 7, v34
	v_lshlrev_b32_e32 v6, 3, v6
	;; [unrolled: 7-line block ×4, first 2 shown]
	scratch_store_dword off, v6, off offset:8 ; 4-byte Folded Spill
	ds_write_b64 v6, v[84:85]
	ds_write2_b64 v6, v[106:107], v[104:105] offset0:1 offset1:2
	ds_write2_b64 v6, v[16:17], v[24:25] offset0:3 offset1:4
	ds_write2_b64 v6, v[20:21], v[46:47] offset0:5 offset1:6
	v_mul_u32_u24_e32 v6, 7, v26
	v_mul_f32_e32 v112, 0xbf5ff5aa, v9
	v_lshlrev_b32_e32 v6, 3, v6
	v_fmac_f32_e32 v112, 0xbeae86e6, v5
	scratch_store_dword off, v6, off offset:4 ; 4-byte Folded Spill
	ds_write_b64 v6, v[86:87]
	ds_write2_b64 v6, v[108:109], v[40:41] offset0:1 offset1:2
	ds_write2_b64 v6, v[12:13], v[22:23] offset0:3 offset1:4
	;; [unrolled: 1-line block ×3, first 2 shown]
	v_mul_u32_u24_e32 v6, 7, v28
	v_add_f32_e32 v29, v29, v14
	v_add_f32_e32 v15, v15, v113
	;; [unrolled: 1-line block ×5, first 2 shown]
	v_fmac_f32_e32 v39, 0x3ee1c552, v3
	v_fmac_f32_e32 v112, 0x3ee1c552, v3
	v_lshlrev_b32_e32 v6, 3, v6
	v_sub_f32_e32 v3, v29, v43
	v_add_f32_e32 v4, v112, v38
	v_sub_f32_e32 v5, v31, v111
	v_sub_f32_e32 v8, v15, v39
	v_add_f32_e32 v9, v33, v35
	v_add_f32_e32 v14, v39, v15
	v_sub_f32_e32 v15, v35, v33
	v_sub_f32_e32 v38, v38, v112
	v_add_f32_e32 v39, v111, v31
	v_add_f32_e32 v43, v43, v29
	scratch_store_dword off, v6, off        ; 4-byte Folded Spill
	ds_write_b64 v6, v[0:1]
	ds_write2_b64 v6, v[2:3], v[4:5] offset0:1 offset1:2
	ds_write2_b64 v6, v[8:9], v[14:15] offset0:3 offset1:4
	;; [unrolled: 1-line block ×3, first 2 shown]
	v_mov_b32_e32 v0, 37
	v_mul_lo_u16_sdwa v1, v146, v0 dst_sel:DWORD dst_unused:UNUSED_PAD src0_sel:BYTE_0 src1_sel:DWORD
	v_sub_u16_sdwa v2, v146, v1 dst_sel:DWORD dst_unused:UNUSED_PAD src0_sel:DWORD src1_sel:BYTE_1
	v_lshrrev_b16_e32 v2, 1, v2
	v_and_b32_e32 v2, 0x7f, v2
	v_add_u16_sdwa v1, v2, v1 dst_sel:DWORD dst_unused:UNUSED_PAD src0_sel:DWORD src1_sel:BYTE_1
	v_mul_lo_u16_sdwa v2, v120, v0 dst_sel:DWORD dst_unused:UNUSED_PAD src0_sel:BYTE_0 src1_sel:DWORD
	v_sub_u16_sdwa v3, v120, v2 dst_sel:DWORD dst_unused:UNUSED_PAD src0_sel:DWORD src1_sel:BYTE_1
	v_lshrrev_b16_e32 v3, 1, v3
	v_and_b32_e32 v3, 0x7f, v3
	v_lshrrev_b16_e32 v54, 2, v1
	v_add_u16_sdwa v2, v3, v2 dst_sel:DWORD dst_unused:UNUSED_PAD src0_sel:DWORD src1_sel:BYTE_1
	v_mul_lo_u16_e32 v1, 7, v54
	v_lshrrev_b16_e32 v38, 2, v2
	v_sub_u16_e32 v1, v146, v1
	v_mul_lo_u16_e32 v2, 7, v38
	v_and_b32_e32 v55, 0xff, v1
	v_sub_u16_e32 v2, v120, v2
	v_mul_u32_u24_e32 v1, 6, v55
	v_and_b32_e32 v39, 0xff, v2
	v_lshlrev_b32_e32 v1, 3, v1
	v_mul_u32_u24_e32 v2, 6, v39
	s_waitcnt lgkmcnt(0)
	; wave barrier
	s_waitcnt lgkmcnt(0)
	global_load_dwordx4 v[96:99], v1, s[10:11] offset:16
	global_load_dwordx4 v[104:107], v1, s[10:11]
	global_load_dwordx4 v[128:131], v1, s[10:11] offset:32
	v_lshlrev_b32_e32 v1, 3, v2
	global_load_dwordx4 v[108:111], v1, s[10:11]
	global_load_dwordx4 v[100:103], v1, s[10:11] offset:16
	global_load_dwordx4 v[64:67], v1, s[10:11] offset:32
	v_mul_lo_u16_sdwa v1, v34, v0 dst_sel:DWORD dst_unused:UNUSED_PAD src0_sel:BYTE_0 src1_sel:DWORD
	v_sub_u16_sdwa v2, v34, v1 dst_sel:DWORD dst_unused:UNUSED_PAD src0_sel:DWORD src1_sel:BYTE_1
	v_lshrrev_b16_e32 v2, 1, v2
	v_and_b32_e32 v2, 0x7f, v2
	v_add_u16_sdwa v1, v2, v1 dst_sel:DWORD dst_unused:UNUSED_PAD src0_sel:DWORD src1_sel:BYTE_1
	v_lshrrev_b16_e32 v31, 2, v1
	v_mul_lo_u16_e32 v1, 7, v31
	v_sub_u16_e32 v1, v34, v1
	v_and_b32_e32 v35, 0xff, v1
	v_mul_u32_u24_e32 v1, 6, v35
	v_lshlrev_b32_e32 v1, 3, v1
	global_load_dwordx4 v[180:183], v1, s[10:11]
	global_load_dwordx4 v[164:167], v1, s[10:11] offset:16
	global_load_dwordx4 v[8:11], v1, s[10:11] offset:32
	v_mul_lo_u16_sdwa v1, v32, v0 dst_sel:DWORD dst_unused:UNUSED_PAD src0_sel:BYTE_0 src1_sel:DWORD
	v_sub_u16_sdwa v2, v32, v1 dst_sel:DWORD dst_unused:UNUSED_PAD src0_sel:DWORD src1_sel:BYTE_1
	v_lshrrev_b16_e32 v2, 1, v2
	v_and_b32_e32 v2, 0x7f, v2
	v_add_u16_sdwa v1, v2, v1 dst_sel:DWORD dst_unused:UNUSED_PAD src0_sel:DWORD src1_sel:BYTE_1
	v_mul_lo_u16_sdwa v0, v30, v0 dst_sel:DWORD dst_unused:UNUSED_PAD src0_sel:BYTE_0 src1_sel:DWORD
	v_lshrrev_b16_e32 v29, 2, v1
	v_sub_u16_sdwa v2, v30, v0 dst_sel:DWORD dst_unused:UNUSED_PAD src0_sel:DWORD src1_sel:BYTE_1
	v_mul_lo_u16_e32 v1, 7, v29
	v_lshrrev_b16_e32 v2, 1, v2
	v_sub_u16_e32 v1, v32, v1
	v_and_b32_e32 v2, 0x7f, v2
	v_and_b32_e32 v33, 0xff, v1
	v_add_u16_sdwa v0, v2, v0 dst_sel:DWORD dst_unused:UNUSED_PAD src0_sel:DWORD src1_sel:BYTE_1
	v_mul_u32_u24_e32 v1, 6, v33
	v_lshrrev_b16_e32 v3, 2, v0
	v_lshlrev_b32_e32 v1, 3, v1
	v_mul_lo_u16_e32 v0, 7, v3
	global_load_dwordx4 v[20:23], v1, s[10:11] offset:32
	global_load_dwordx4 v[112:115], v1, s[10:11]
	v_sub_u16_e32 v0, v30, v0
	v_and_b32_e32 v27, 0xff, v0
	v_mul_u32_u24_e32 v0, 6, v27
	v_lshlrev_b32_e32 v0, 3, v0
	global_load_dwordx4 v[124:127], v0, s[10:11]
	global_load_dwordx4 v[156:159], v1, s[10:11] offset:16
	v_accvgpr_write_b32 a8, v120
	ds_read2_b64 v[4:7], v153 offset0:174 offset1:223
	ds_read2_b64 v[12:15], v225 offset0:92 offset1:141
	;; [unrolled: 1-line block ×9, first 2 shown]
	global_load_dwordx4 v[160:163], v0, s[10:11] offset:16
	global_load_dwordx4 v[176:179], v0, s[10:11] offset:32
	s_movk_i32 s6, 0x2493
	v_mov_b32_e32 v252, v152
	v_mov_b32_e32 v253, v153
	;; [unrolled: 1-line block ×7, first 2 shown]
	ds_read2_b64 v[232:235], v224 offset0:70 offset1:119
	v_mul_u32_u24_e32 v3, 49, v3
	v_accvgpr_write_b32 a1, v184
	v_accvgpr_write_b32 a104, v40
	;; [unrolled: 1-line block ×7, first 2 shown]
	s_mov_b32 s12, 0x3eae86e6
	s_mov_b32 s13, 0xbf08b237
	s_waitcnt vmcnt(14) lgkmcnt(8)
	v_mul_f32_e32 v135, v12, v99
	s_waitcnt vmcnt(13)
	v_mul_f32_e32 v1, v5, v107
	v_fma_f32 v132, v4, v106, -v1
	v_mul_f32_e32 v1, v13, v99
	v_fma_f32 v134, v12, v98, -v1
	s_waitcnt vmcnt(12) lgkmcnt(7)
	v_mul_f32_e32 v1, v17, v131
	v_fma_f32 v136, v16, v130, -v1
	s_waitcnt vmcnt(11)
	v_mul_f32_e32 v1, v7, v111
	v_mul_f32_e32 v133, v4, v107
	v_fma_f32 v84, v6, v110, -v1
	v_mul_f32_e32 v85, v6, v111
	s_waitcnt lgkmcnt(6)
	v_mul_f32_e32 v1, v45, v109
	v_fmac_f32_e32 v133, v5, v106
	v_fmac_f32_e32 v85, v7, v110
	v_fma_f32 v90, v44, v108, -v1
	s_waitcnt vmcnt(10)
	v_mul_f32_e32 v1, v15, v103
	s_waitcnt vmcnt(9)
	v_mov_b64_e32 v[4:5], v[64:65]
	v_fma_f32 v88, v14, v102, -v1
	s_waitcnt lgkmcnt(5)
	v_mul_f32_e32 v1, v49, v101
	v_mov_b64_e32 v[6:7], v[66:67]
	v_fma_f32 v94, v48, v100, -v1
	v_mul_f32_e32 v1, v19, v7
	v_fma_f32 v116, v18, v6, -v1
	s_waitcnt lgkmcnt(4)
	v_mul_f32_e32 v1, v57, v5
	v_fma_f32 v118, v56, v4, -v1
	s_waitcnt vmcnt(8)
	v_mul_f32_e32 v1, v47, v181
	v_fma_f32 v66, v46, v180, -v1
	s_waitcnt lgkmcnt(3)
	v_mul_f32_e32 v1, v61, v183
	v_fma_f32 v68, v60, v182, -v1
	s_waitcnt vmcnt(7)
	v_mul_f32_e32 v1, v51, v165
	v_mul_f32_e32 v117, v18, v7
	;; [unrolled: 1-line block ×3, first 2 shown]
	v_accvgpr_write_b32 a141, v7
	v_fma_f32 v69, v50, v164, -v1
	s_waitcnt vmcnt(6)
	v_mul_f32_e32 v1, v59, v9
	v_fmac_f32_e32 v117, v19, v6
	v_fmac_f32_e32 v119, v57, v4
	v_accvgpr_write_b32 a140, v6
	v_accvgpr_write_b32 a139, v5
	;; [unrolled: 1-line block ×3, first 2 shown]
	v_fma_f32 v72, v58, v8, -v1
	s_waitcnt lgkmcnt(2)
	v_mul_f32_e32 v1, v79, v11
	ds_read2_b64 v[4:7], v152 offset0:152 offset1:201
	v_fma_f32 v76, v78, v10, -v1
	s_waitcnt vmcnt(4) lgkmcnt(2)
	v_mul_f32_e32 v1, v121, v113
	v_mul_f32_e32 v95, v48, v101
	v_fma_f32 v48, v120, v112, -v1
	v_mul_f32_e32 v1, v63, v115
	v_mul_f32_e32 v67, v46, v181
	v_fma_f32 v46, v62, v114, -v1
	v_mul_f32_e32 v1, v81, v23
	v_fma_f32 v52, v80, v22, -v1
	s_waitcnt vmcnt(3)
	v_mul_f32_e32 v1, v123, v125
	v_mul_f32_e32 v91, v44, v109
	v_fma_f32 v44, v122, v124, -v1
	s_waitcnt vmcnt(2) lgkmcnt(0)
	v_mul_f32_e32 v1, v5, v157
	v_fma_f32 v56, v4, v156, -v1
	s_waitcnt vmcnt(1)
	v_mul_f32_e32 v1, v7, v161
	v_mul_f32_e32 v53, v80, v23
	v_fma_f32 v80, v6, v160, -v1
	v_mul_u32_u24_sdwa v1, v26, s6 dst_sel:DWORD dst_unused:UNUSED_PAD src0_sel:WORD_0 src1_sel:DWORD
	v_sub_u16_sdwa v2, v26, v1 dst_sel:DWORD dst_unused:UNUSED_PAD src0_sel:DWORD src1_sel:WORD_1
	v_lshrrev_b16_e32 v2, 1, v2
	v_add_u16_sdwa v1, v2, v1 dst_sel:DWORD dst_unused:UNUSED_PAD src0_sel:DWORD src1_sel:WORD_1
	v_fmac_f32_e32 v67, v47, v180
	v_mul_f32_e32 v47, v62, v115
	v_lshrrev_b16_e32 v62, 2, v1
	v_mul_lo_u16_e32 v1, 7, v62
	v_fmac_f32_e32 v47, v63, v114
	v_sub_u16_e32 v63, v26, v1
	v_mul_lo_u16_e32 v1, 6, v63
	v_mul_f32_e32 v73, v58, v9
	v_mul_f32_e32 v77, v78, v11
	v_accvgpr_write_b32 a109, v11
	v_lshlrev_b32_e32 v1, 3, v1
	v_fmac_f32_e32 v73, v59, v8
	v_fmac_f32_e32 v77, v79, v10
	v_accvgpr_write_b32 a108, v10
	v_accvgpr_write_b32 a107, v9
	;; [unrolled: 1-line block ×3, first 2 shown]
	global_load_dwordx4 v[8:11], v1, s[10:11]
	global_load_dwordx4 v[172:175], v1, s[10:11] offset:32
	v_fmac_f32_e32 v53, v81, v22
	v_mul_f32_e32 v57, v4, v157
	v_mul_f32_e32 v81, v6, v161
	v_fmac_f32_e32 v57, v5, v156
	v_fmac_f32_e32 v81, v7, v160
	ds_read2_b64 v[4:7], v184 offset0:114 offset1:163
	v_fmac_f32_e32 v91, v45, v108
	v_mul_f32_e32 v45, v122, v125
	v_accvgpr_write_b32 a161, v127
	v_fmac_f32_e32 v45, v123, v124
	s_waitcnt lgkmcnt(0)
	v_mul_f32_e32 v2, v5, v127
	v_fma_f32 v82, v4, v126, -v2
	v_mul_f32_e32 v83, v4, v127
	v_fmac_f32_e32 v83, v5, v126
	v_accvgpr_write_b32 a160, v126
	v_accvgpr_write_b32 a159, v125
	;; [unrolled: 1-line block ×3, first 2 shown]
	v_mul_f32_e32 v70, v50, v165
	v_fmac_f32_e32 v70, v51, v164
	v_fmac_f32_e32 v95, v49, v100
	v_mul_f32_e32 v49, v120, v113
	global_load_dwordx4 v[188:191], v1, s[10:11] offset:16
	v_fmac_f32_e32 v49, v121, v112
	v_mul_f32_e32 v71, v60, v183
	v_fmac_f32_e32 v71, v61, v182
	v_mul_f32_e32 v137, v16, v131
	v_fmac_f32_e32 v137, v17, v130
	ds_read2_b64 v[16:19], v154 offset0:38 offset1:87
	v_mov_b64_e32 v[24:25], v[22:23]
	v_mov_b64_e32 v[22:23], v[20:21]
	v_fmac_f32_e32 v135, v13, v98
	v_mul_f32_e32 v89, v14, v103
	s_waitcnt lgkmcnt(0)
	v_mul_f32_e32 v199, v18, v105
	v_fmac_f32_e32 v199, v19, v104
	v_add_f32_e32 v207, v199, v137
	v_add_f32_e32 v154, v90, v116
	;; [unrolled: 1-line block ×3, first 2 shown]
	v_fmac_f32_e32 v89, v15, v102
	v_add_f32_e32 v168, v94, v88
	v_add_f32_e32 v171, v91, v117
	;; [unrolled: 1-line block ×4, first 2 shown]
	s_waitcnt vmcnt(3)
	v_mul_f32_e32 v222, v234, v177
	v_fmac_f32_e32 v222, v235, v176
	v_add_f32_e32 v229, v83, v222
	v_add_f32_e32 v231, v66, v76
	;; [unrolled: 1-line block ×5, first 2 shown]
	s_waitcnt vmcnt(2)
	v_mul_f32_e32 v2, v7, v11
	v_mul_f32_e32 v65, v6, v11
	v_fma_f32 v64, v6, v10, -v2
	v_fmac_f32_e32 v65, v7, v10
	ds_read2_b64 v[4:7], v185 offset0:206 offset1:255
	v_accvgpr_write_b32 a175, v11
	v_accvgpr_write_b32 a174, v10
	;; [unrolled: 1-line block ×4, first 2 shown]
	s_waitcnt lgkmcnt(0)
	v_mul_f32_e32 v0, v5, v179
	v_fma_f32 v124, v4, v178, -v0
	s_waitcnt vmcnt(1)
	v_mul_f32_e32 v0, v7, v175
	v_fma_f32 v74, v6, v174, -v0
	v_mul_u32_u24_sdwa v0, v28, s6 dst_sel:DWORD dst_unused:UNUSED_PAD src0_sel:WORD_0 src1_sel:DWORD
	v_sub_u16_sdwa v2, v28, v0 dst_sel:DWORD dst_unused:UNUSED_PAD src0_sel:DWORD src1_sel:WORD_1
	v_mul_f32_e32 v125, v4, v179
	v_mul_f32_e32 v75, v6, v175
	v_lshrrev_b16_e32 v2, 1, v2
	v_fmac_f32_e32 v125, v5, v178
	v_fmac_f32_e32 v75, v7, v174
	v_add_u16_sdwa v0, v2, v0 dst_sel:DWORD dst_unused:UNUSED_PAD src0_sel:DWORD src1_sel:WORD_1
	ds_read2_b64 v[4:7], v153 offset0:76 offset1:125
	v_lshrrev_b16_e32 v50, 2, v0
	v_mul_lo_u16_e32 v0, 7, v50
	v_sub_u16_e32 v51, v28, v0
	v_mul_lo_u16_e32 v0, 6, v51
	s_waitcnt lgkmcnt(0)
	v_mul_f32_e32 v2, v5, v9
	v_mul_f32_e32 v79, v4, v9
	v_lshlrev_b32_e32 v0, 3, v0
	global_load_dwordx4 v[192:195], v0, s[10:11] offset:32
	v_fma_f32 v78, v4, v8, -v2
	v_fmac_f32_e32 v79, v5, v8
	global_load_dwordx4 v[8:11], v0, s[10:11]
	global_load_dwordx4 v[120:123], v0, s[10:11] offset:16
	v_add_f32_e32 v216, v78, v74
	v_add_f32_e32 v219, v79, v75
	v_add_f32_e32 v228, v45, v125
	s_waitcnt vmcnt(1)
	v_mul_f32_e32 v2, v7, v9
	v_mul_f32_e32 v59, v6, v9
	v_fma_f32 v58, v6, v8, -v2
	v_fmac_f32_e32 v59, v7, v8
	ds_read2_b64 v[4:7], v149 offset0:84 offset1:133
	v_accvgpr_write_b32 a179, v11
	v_accvgpr_write_b32 a178, v10
	;; [unrolled: 1-line block ×4, first 2 shown]
	s_waitcnt lgkmcnt(0)
	v_mul_f32_e32 v2, v7, v97
	v_fma_f32 v152, v6, v96, -v2
	v_mul_f32_e32 v153, v6, v97
	v_mul_f32_e32 v2, v5, v11
	;; [unrolled: 1-line block ×3, first 2 shown]
	v_fmac_f32_e32 v153, v7, v96
	v_fma_f32 v60, v4, v10, -v2
	v_fmac_f32_e32 v61, v5, v10
	ds_read2_b64 v[4:7], v150 offset0:122 offset1:171
	v_add_f32_e32 v204, v152, v134
	v_add_f32_e32 v209, v153, v135
	v_sub_f32_e32 v134, v134, v152
	v_sub_f32_e32 v135, v135, v153
	s_waitcnt lgkmcnt(0)
	v_mul_f32_e32 v1, v5, v189
	v_fma_f32 v126, v4, v188, -v1
	s_waitcnt vmcnt(0)
	v_mul_f32_e32 v1, v7, v121
	v_fma_f32 v86, v6, v120, -v1
	v_mul_f32_e32 v1, v19, v105
	v_fma_f32 v198, v18, v104, -v1
	ds_read2_b64 v[18:21], v249 offset0:130 offset1:179
	v_mul_f32_e32 v127, v4, v189
	v_mul_f32_e32 v87, v6, v121
	v_add_f32_e32 v202, v198, v136
	v_fmac_f32_e32 v127, v5, v188
	s_waitcnt lgkmcnt(0)
	v_mul_f32_e32 v1, v21, v129
	v_fma_f32 v200, v20, v128, -v1
	v_mul_f32_e32 v201, v20, v129
	v_fmac_f32_e32 v201, v21, v128
	v_add_f32_e32 v203, v132, v200
	v_fmac_f32_e32 v87, v7, v120
	v_add_f32_e32 v1, v203, v202
	v_add_f32_e32 v208, v133, v201
	ds_read2_b64 v[4:7], v186 offset1:49
	v_add_f32_e32 v205, v204, v1
	v_add_f32_e32 v1, v208, v207
	;; [unrolled: 1-line block ×7, first 2 shown]
	s_waitcnt lgkmcnt(0)
	v_add_f32_e32 v14, v169, v6
	v_add_f32_e32 v15, v170, v7
	v_mul_f32_e32 v1, v19, v123
	v_mul_f32_e32 v139, v18, v123
	ds_read_b64 v[6:7], v186 offset:18816
	v_fma_f32 v138, v18, v122, -v1
	v_fmac_f32_e32 v139, v19, v122
	ds_read2_b64 v[18:21], v224 offset0:168 offset1:217
	v_add_f32_e32 v146, v86, v138
	s_waitcnt lgkmcnt(1)
	v_mul_f32_e32 v0, v7, v195
	v_fma_f32 v140, v6, v194, -v0
	v_mul_f32_e32 v141, v6, v195
	s_waitcnt lgkmcnt(0)
	v_mul_f32_e32 v0, v21, v193
	v_fma_f32 v144, v20, v192, -v0
	v_mul_f32_e32 v145, v20, v193
	v_fmac_f32_e32 v141, v7, v194
	v_fmac_f32_e32 v145, v21, v192
	v_add_f32_e32 v142, v58, v140
	v_add_f32_e32 v143, v60, v144
	;; [unrolled: 1-line block ×9, first 2 shown]
	v_mul_f32_e32 v2, v19, v173
	v_mul_f32_e32 v211, v18, v173
	v_add_f32_e32 v0, v147, v16
	v_add_f32_e32 v1, v148, v17
	v_fma_f32 v210, v18, v172, -v2
	v_fmac_f32_e32 v211, v19, v172
	ds_read2_b64 v[16:19], v249 offset0:32 offset1:81
	v_add_f32_e32 v217, v64, v210
	v_add_f32_e32 v7, v217, v216
	;; [unrolled: 1-line block ×3, first 2 shown]
	v_sub_f32_e32 v132, v132, v200
	s_waitcnt lgkmcnt(0)
	v_mul_f32_e32 v2, v19, v191
	v_fma_f32 v212, v18, v190, -v2
	v_mul_f32_e32 v213, v18, v191
	v_fmac_f32_e32 v213, v19, v190
	v_add_f32_e32 v218, v126, v212
	v_add_f32_e32 v214, v218, v7
	;; [unrolled: 1-line block ×5, first 2 shown]
	v_mul_f32_e32 v7, v235, v177
	v_fma_f32 v13, v234, v176, -v7
	ds_read2_b64 v[234:237], v225 offset0:190 offset1:239
	v_mul_f32_e32 v2, v17, v163
	v_fma_f32 v2, v16, v162, -v2
	v_mul_f32_e32 v6, v16, v163
	v_add_f32_e32 v7, v44, v124
	v_add_f32_e32 v12, v82, v13
	v_fmac_f32_e32 v6, v17, v162
	v_add_f32_e32 v223, v80, v2
	v_add_f32_e32 v8, v12, v7
	;; [unrolled: 1-line block ×6, first 2 shown]
	s_waitcnt lgkmcnt(0)
	v_mul_f32_e32 v8, v235, v167
	v_mul_f32_e32 v9, v234, v167
	;; [unrolled: 1-line block ×4, first 2 shown]
	v_fma_f32 v8, v234, v166, -v8
	v_fmac_f32_e32 v9, v235, v166
	v_fma_f32 v10, v236, v158, -v10
	v_fmac_f32_e32 v11, v237, v158
	v_mov_b64_e32 v[236:237], v[24:25]
	v_mov_b64_e32 v[234:235], v[22:23]
	v_sub_f32_e32 v22, v198, v136
	v_sub_f32_e32 v133, v133, v201
	v_add_f32_e32 v200, v134, v132
	v_add_f32_e32 v4, v205, v4
	ds_read2_b64 v[18:21], v186 offset0:196 offset1:245
	v_sub_f32_e32 v23, v199, v137
	v_sub_f32_e32 v201, v134, v132
	;; [unrolled: 1-line block ×4, first 2 shown]
	v_add_f32_e32 v200, v200, v22
	v_add_f32_e32 v22, v135, v133
	;; [unrolled: 1-line block ×3, first 2 shown]
	v_sub_f32_e32 v136, v203, v202
	v_sub_f32_e32 v137, v202, v204
	;; [unrolled: 1-line block ×5, first 2 shown]
	v_add_f32_e32 v203, v22, v23
	v_mov_b32_e32 v204, v4
	v_mul_u32_u24_e32 v22, 49, v54
	v_sub_f32_e32 v153, v208, v207
	v_sub_f32_e32 v199, v209, v208
	;; [unrolled: 1-line block ×4, first 2 shown]
	v_fmac_f32_e32 v204, 0xbf955555, v205
	v_mov_b32_e32 v205, v5
	v_add_lshl_u32 v42, v22, v55, 3
	v_mul_f32_e32 v22, 0x3f4a47b2, v137
	v_mul_f32_e32 v23, 0x3f4a47b2, v198
	;; [unrolled: 1-line block ×4, first 2 shown]
	v_fmac_f32_e32 v205, 0xbf955555, v206
	v_fma_f32 v137, v136, s17, -v22
	v_fmac_f32_e32 v22, 0x3d64c772, v152
	v_fma_f32 v198, v153, s17, -v23
	;; [unrolled: 2-line block ×4, first 2 shown]
	v_fmac_f32_e32 v55, 0x3eae86e6, v135
	v_add_f32_e32 v206, v22, v204
	v_add_f32_e32 v207, v23, v205
	v_fmac_f32_e32 v54, 0x3ee1c552, v200
	v_fmac_f32_e32 v55, 0x3ee1c552, v203
	s_waitcnt lgkmcnt(0)
	v_add_f32_e32 v16, v214, v20
	v_mul_f32_e32 v20, v233, v235
	v_mul_f32_e32 v25, v232, v235
	v_accvgpr_write_b32 a190, v234
	v_add_f32_e32 v22, v55, v206
	v_sub_f32_e32 v23, v207, v54
	v_fma_f32 v24, v232, v234, -v20
	v_fmac_f32_e32 v25, v233, v234
	v_accvgpr_write_b32 a191, v235
	v_accvgpr_write_b32 a192, v236
	;; [unrolled: 1-line block ×3, first 2 shown]
	ds_read2_b64 v[232:235], v186 offset0:98 offset1:147
	s_waitcnt lgkmcnt(0)
	; wave barrier
	s_waitcnt lgkmcnt(0)
	ds_write2_b64 v42, v[4:5], v[22:23] offset1:7
	v_mul_f32_e32 v4, 0x3d64c772, v152
	v_mul_f32_e32 v5, 0x3d64c772, v199
	;; [unrolled: 1-line block ×4, first 2 shown]
	v_fma_f32 v4, v136, s2, -v4
	v_fma_f32 v5, v153, s2, -v5
	v_fmac_f32_e32 v132, 0xbeae86e6, v134
	v_fmac_f32_e32 v133, 0xbeae86e6, v135
	v_add_f32_e32 v134, v4, v204
	v_add_f32_e32 v135, v137, v204
	v_add_f32_e32 v136, v5, v205
	v_add_f32_e32 v137, v198, v205
	v_fmac_f32_e32 v201, 0x3ee1c552, v200
	v_fmac_f32_e32 v132, 0x3ee1c552, v200
	;; [unrolled: 1-line block ×4, first 2 shown]
	v_add_f32_e32 v4, v133, v135
	v_sub_f32_e32 v5, v137, v132
	v_sub_f32_e32 v22, v134, v202
	v_add_f32_e32 v23, v201, v136
	ds_write2_b64 v42, v[4:5], v[22:23] offset0:14 offset1:21
	v_add_f32_e32 v4, v202, v134
	v_sub_f32_e32 v5, v136, v201
	v_sub_f32_e32 v22, v135, v133
	v_add_f32_e32 v23, v132, v137
	ds_write2_b64 v42, v[4:5], v[22:23] offset0:28 offset1:35
	v_sub_f32_e32 v4, v206, v55
	v_add_f32_e32 v5, v54, v207
	v_sub_f32_e32 v22, v84, v118
	v_sub_f32_e32 v54, v88, v94
	ds_write_b64 v42, v[4:5] offset:336
	v_sub_f32_e32 v4, v90, v116
	v_sub_f32_e32 v23, v85, v119
	;; [unrolled: 1-line block ×3, first 2 shown]
	v_add_f32_e32 v94, v54, v22
	v_sub_f32_e32 v5, v91, v117
	v_sub_f32_e32 v95, v54, v22
	;; [unrolled: 1-line block ×4, first 2 shown]
	v_add_f32_e32 v94, v94, v4
	v_add_f32_e32 v4, v55, v23
	v_sub_f32_e32 v85, v154, v168
	v_sub_f32_e32 v90, v171, v197
	;; [unrolled: 1-line block ×3, first 2 shown]
	v_add_f32_e32 v117, v4, v5
	v_mul_u32_u24_e32 v4, 49, v38
	v_accvgpr_write_b32 a21, v42
	v_sub_f32_e32 v84, v155, v154
	v_sub_f32_e32 v88, v168, v155
	;; [unrolled: 1-line block ×6, first 2 shown]
	v_mov_b32_e32 v118, v14
	v_mov_b32_e32 v119, v15
	v_add_lshl_u32 v42, v4, v39, 3
	v_mul_f32_e32 v4, 0x3f4a47b2, v85
	v_mul_f32_e32 v5, 0x3f4a47b2, v90
	;; [unrolled: 1-line block ×4, first 2 shown]
	v_fmac_f32_e32 v118, 0xbf955555, v169
	v_fmac_f32_e32 v119, 0xbf955555, v170
	v_fma_f32 v85, v84, s17, -v4
	v_fmac_f32_e32 v4, 0x3d64c772, v88
	v_fma_f32 v90, v89, s17, -v5
	;; [unrolled: 2-line block ×4, first 2 shown]
	v_fmac_f32_e32 v39, 0x3eae86e6, v55
	v_add_f32_e32 v132, v4, v118
	v_add_f32_e32 v133, v5, v119
	v_fmac_f32_e32 v38, 0x3ee1c552, v94
	v_fmac_f32_e32 v39, 0x3ee1c552, v117
	v_add_f32_e32 v4, v39, v132
	v_sub_f32_e32 v5, v133, v38
	ds_write2_b64 v42, v[14:15], v[4:5] offset1:7
	v_mul_f32_e32 v4, 0x3d64c772, v88
	v_mul_f32_e32 v5, 0x3d64c772, v91
	;; [unrolled: 1-line block ×4, first 2 shown]
	v_fma_f32 v4, v84, s2, -v4
	v_fma_f32 v5, v89, s2, -v5
	v_fmac_f32_e32 v22, 0xbeae86e6, v54
	v_fmac_f32_e32 v23, 0xbeae86e6, v55
	v_add_f32_e32 v54, v4, v118
	v_add_f32_e32 v55, v85, v118
	;; [unrolled: 1-line block ×4, first 2 shown]
	v_fmac_f32_e32 v95, 0x3ee1c552, v94
	v_fmac_f32_e32 v22, 0x3ee1c552, v94
	;; [unrolled: 1-line block ×4, first 2 shown]
	v_add_f32_e32 v4, v23, v55
	v_sub_f32_e32 v5, v85, v22
	v_sub_f32_e32 v14, v54, v116
	v_add_f32_e32 v15, v95, v84
	v_add_f32_e32 v236, v68, v72
	ds_write2_b64 v42, v[4:5], v[14:15] offset0:14 offset1:21
	v_add_f32_e32 v4, v116, v54
	v_sub_f32_e32 v5, v84, v95
	v_sub_f32_e32 v14, v55, v23
	v_add_f32_e32 v15, v22, v85
	v_add_f32_e32 v237, v69, v8
	;; [unrolled: 1-line block ×3, first 2 shown]
	ds_write2_b64 v42, v[4:5], v[14:15] offset0:28 offset1:35
	v_sub_f32_e32 v4, v132, v39
	v_add_f32_e32 v5, v38, v133
	v_sub_f32_e32 v14, v68, v72
	v_sub_f32_e32 v8, v8, v69
	v_add_f32_e32 v238, v237, v20
	v_add_f32_e32 v241, v70, v9
	;; [unrolled: 1-line block ×3, first 2 shown]
	ds_write_b64 v42, v[4:5] offset:336
	v_sub_f32_e32 v4, v66, v76
	v_sub_f32_e32 v15, v71, v73
	;; [unrolled: 1-line block ×3, first 2 shown]
	v_add_f32_e32 v66, v8, v14
	v_add_f32_e32 v242, v241, v20
	v_sub_f32_e32 v5, v67, v77
	v_sub_f32_e32 v67, v8, v14
	;; [unrolled: 1-line block ×4, first 2 shown]
	v_add_f32_e32 v66, v66, v4
	v_add_f32_e32 v4, v9, v15
	;; [unrolled: 1-line block ×4, first 2 shown]
	v_sub_f32_e32 v23, v231, v237
	v_sub_f32_e32 v54, v239, v241
	;; [unrolled: 1-line block ×3, first 2 shown]
	v_add_f32_e32 v69, v4, v5
	v_mul_u32_u24_e32 v4, 49, v31
	v_accvgpr_write_b32 a103, v42
	v_sub_f32_e32 v22, v236, v231
	v_sub_f32_e32 v38, v237, v236
	;; [unrolled: 1-line block ×6, first 2 shown]
	v_mov_b32_e32 v70, v36
	v_mov_b32_e32 v71, v37
	v_add_lshl_u32 v42, v4, v35, 3
	v_mul_f32_e32 v4, 0x3f4a47b2, v23
	v_mul_f32_e32 v5, 0x3f4a47b2, v54
	;; [unrolled: 1-line block ×4, first 2 shown]
	v_fmac_f32_e32 v70, 0xbf955555, v238
	v_fmac_f32_e32 v71, 0xbf955555, v242
	v_fma_f32 v35, v22, s17, -v4
	v_fmac_f32_e32 v4, 0x3d64c772, v38
	v_fma_f32 v54, v39, s17, -v5
	;; [unrolled: 2-line block ×4, first 2 shown]
	v_fmac_f32_e32 v31, 0x3eae86e6, v9
	v_add_f32_e32 v72, v4, v70
	v_add_f32_e32 v73, v5, v71
	v_fmac_f32_e32 v23, 0x3ee1c552, v66
	v_fmac_f32_e32 v31, 0x3ee1c552, v69
	v_add_f32_e32 v4, v31, v72
	v_sub_f32_e32 v5, v73, v23
	ds_write2_b64 v42, v[36:37], v[4:5] offset1:7
	v_mul_f32_e32 v4, 0x3d64c772, v38
	v_fma_f32 v4, v22, s2, -v4
	v_mul_f32_e32 v22, 0xbf5ff5aa, v14
	v_mul_f32_e32 v5, 0x3d64c772, v55
	v_fmac_f32_e32 v22, 0xbeae86e6, v8
	v_mul_f32_e32 v8, 0xbf5ff5aa, v15
	v_fma_f32 v5, v39, s2, -v5
	v_fmac_f32_e32 v8, 0xbeae86e6, v9
	v_add_f32_e32 v9, v4, v70
	v_add_f32_e32 v35, v35, v70
	;; [unrolled: 1-line block ×4, first 2 shown]
	v_fmac_f32_e32 v67, 0x3ee1c552, v66
	v_fmac_f32_e32 v22, 0x3ee1c552, v66
	v_fmac_f32_e32 v68, 0x3ee1c552, v69
	v_fmac_f32_e32 v8, 0x3ee1c552, v69
	v_add_f32_e32 v4, v8, v35
	v_sub_f32_e32 v5, v37, v22
	v_sub_f32_e32 v14, v9, v68
	v_add_f32_e32 v15, v67, v36
	v_add_f32_e32 v232, v48, v52
	;; [unrolled: 1-line block ×3, first 2 shown]
	ds_write2_b64 v42, v[4:5], v[14:15] offset0:14 offset1:21
	v_add_f32_e32 v4, v68, v9
	v_sub_f32_e32 v5, v36, v67
	v_sub_f32_e32 v14, v35, v8
	v_add_f32_e32 v15, v22, v37
	v_add_f32_e32 v243, v56, v10
	;; [unrolled: 1-line block ×4, first 2 shown]
	ds_write2_b64 v42, v[4:5], v[14:15] offset0:28 offset1:35
	v_sub_f32_e32 v4, v72, v31
	v_add_f32_e32 v5, v23, v73
	v_mul_u32_u24_e32 v8, 49, v29
	v_add_f32_e32 v244, v243, v20
	v_add_f32_e32 v247, v57, v11
	;; [unrolled: 1-line block ×3, first 2 shown]
	ds_write_b64 v42, v[4:5] offset:336
	v_accvgpr_write_b32 a105, v42
	v_add_lshl_u32 v42, v8, v33, 3
	v_sub_f32_e32 v8, v46, v24
	v_sub_f32_e32 v10, v10, v56
	v_add_f32_e32 v248, v247, v20
	v_sub_f32_e32 v4, v48, v52
	v_sub_f32_e32 v9, v47, v25
	v_sub_f32_e32 v11, v11, v57
	v_add_f32_e32 v29, v10, v8
	v_add_f32_e32 v17, v215, v21
	;; [unrolled: 1-line block ×4, first 2 shown]
	v_sub_f32_e32 v5, v49, v53
	v_sub_f32_e32 v15, v232, v243
	;; [unrolled: 1-line block ×6, first 2 shown]
	v_add_f32_e32 v29, v29, v4
	v_add_f32_e32 v4, v11, v9
	v_sub_f32_e32 v33, v11, v9
	v_sub_f32_e32 v14, v233, v232
	;; [unrolled: 1-line block ×7, first 2 shown]
	v_add_f32_e32 v35, v4, v5
	v_mov_b32_e32 v36, v20
	v_mov_b32_e32 v37, v21
	v_mul_f32_e32 v4, 0x3f4a47b2, v15
	v_mul_f32_e32 v5, 0x3f4a47b2, v24
	;; [unrolled: 1-line block ×4, first 2 shown]
	v_fmac_f32_e32 v36, 0xbf955555, v244
	v_fmac_f32_e32 v37, 0xbf955555, v248
	v_fma_f32 v15, v14, s17, -v4
	v_fmac_f32_e32 v4, 0x3d64c772, v22
	v_fma_f32 v33, v23, s17, -v5
	;; [unrolled: 2-line block ×4, first 2 shown]
	v_fmac_f32_e32 v31, 0x3eae86e6, v11
	v_add_f32_e32 v46, v4, v36
	v_add_f32_e32 v47, v5, v37
	v_fmac_f32_e32 v24, 0x3ee1c552, v29
	v_fmac_f32_e32 v31, 0x3ee1c552, v35
	v_add_f32_e32 v4, v31, v46
	v_sub_f32_e32 v5, v47, v24
	ds_write2_b64 v42, v[20:21], v[4:5] offset1:7
	v_mul_f32_e32 v4, 0x3d64c772, v22
	v_mul_f32_e32 v5, 0x3d64c772, v25
	;; [unrolled: 1-line block ×4, first 2 shown]
	v_fma_f32 v4, v14, s2, -v4
	v_fma_f32 v5, v23, s2, -v5
	v_fmac_f32_e32 v8, 0xbeae86e6, v10
	v_fmac_f32_e32 v9, 0xbeae86e6, v11
	v_add_f32_e32 v10, v4, v36
	v_add_f32_e32 v11, v15, v36
	;; [unrolled: 1-line block ×4, first 2 shown]
	v_fmac_f32_e32 v38, 0x3ee1c552, v29
	v_fmac_f32_e32 v8, 0x3ee1c552, v29
	;; [unrolled: 1-line block ×4, first 2 shown]
	v_add_f32_e32 v4, v9, v11
	v_sub_f32_e32 v5, v21, v8
	v_sub_f32_e32 v14, v10, v39
	v_add_f32_e32 v15, v38, v20
	ds_write2_b64 v42, v[4:5], v[14:15] offset0:14 offset1:21
	v_add_f32_e32 v4, v39, v10
	v_sub_f32_e32 v5, v20, v38
	v_sub_f32_e32 v14, v11, v9
	v_add_f32_e32 v15, v8, v21
	ds_write2_b64 v42, v[4:5], v[14:15] offset0:28 offset1:35
	v_sub_f32_e32 v4, v46, v31
	v_add_f32_e32 v5, v24, v47
	ds_write_b64 v42, v[4:5] offset:336
	v_sub_f32_e32 v4, v44, v124
	v_add_lshl_u32 v31, v3, v27, 3
	v_sub_f32_e32 v3, v82, v13
	v_sub_f32_e32 v8, v83, v222
	;; [unrolled: 1-line block ×4, first 2 shown]
	v_add_f32_e32 v18, v226, v18
	v_add_f32_e32 v19, v227, v19
	v_sub_f32_e32 v5, v45, v125
	v_sub_f32_e32 v9, v12, v7
	;; [unrolled: 1-line block ×5, first 2 shown]
	v_add_f32_e32 v14, v2, v3
	v_sub_f32_e32 v15, v2, v3
	v_sub_f32_e32 v20, v4, v2
	;; [unrolled: 1-line block ×3, first 2 shown]
	v_add_f32_e32 v2, v6, v8
	v_sub_f32_e32 v3, v6, v8
	v_sub_f32_e32 v11, v229, v228
	;; [unrolled: 1-line block ×3, first 2 shown]
	v_add_f32_e32 v4, v14, v4
	v_sub_f32_e32 v6, v5, v6
	v_sub_f32_e32 v8, v8, v5
	v_add_f32_e32 v5, v2, v5
	v_mov_b32_e32 v14, v18
	v_mov_b32_e32 v22, v19
	v_mul_f32_e32 v2, 0x3f4a47b2, v7
	v_mul_f32_e32 v7, 0x3f4a47b2, v12
	v_mul_f32_e32 v12, 0xbf08b237, v15
	v_mul_f32_e32 v15, 0xbf08b237, v3
	v_fmac_f32_e32 v14, 0xbf955555, v226
	v_fmac_f32_e32 v22, 0xbf955555, v227
	v_fma_f32 v23, v9, s17, -v2
	v_fmac_f32_e32 v2, 0x3d64c772, v10
	v_fma_f32 v24, v11, s17, -v7
	;; [unrolled: 2-line block ×4, first 2 shown]
	v_fmac_f32_e32 v15, 0x3eae86e6, v6
	v_add_f32_e32 v29, v2, v14
	v_add_f32_e32 v7, v7, v22
	v_fmac_f32_e32 v12, 0x3ee1c552, v4
	v_fmac_f32_e32 v15, 0x3ee1c552, v5
	v_add_f32_e32 v2, v15, v29
	v_sub_f32_e32 v3, v7, v12
	ds_write2_b64 v31, v[18:19], v[2:3] offset1:7
	v_mul_f32_e32 v2, 0x3d64c772, v10
	v_fma_f32 v2, v9, s2, -v2
	v_mul_f32_e32 v3, 0x3d64c772, v13
	v_mul_f32_e32 v9, 0xbf5ff5aa, v21
	;; [unrolled: 1-line block ×3, first 2 shown]
	v_fma_f32 v3, v11, s2, -v3
	v_fmac_f32_e32 v9, 0xbeae86e6, v20
	v_fmac_f32_e32 v8, 0xbeae86e6, v6
	v_add_f32_e32 v6, v2, v14
	v_add_f32_e32 v10, v23, v14
	;; [unrolled: 1-line block ×4, first 2 shown]
	v_fmac_f32_e32 v25, 0x3ee1c552, v4
	v_fmac_f32_e32 v9, 0x3ee1c552, v4
	;; [unrolled: 1-line block ×4, first 2 shown]
	v_add_f32_e32 v2, v8, v10
	v_sub_f32_e32 v3, v13, v9
	v_sub_f32_e32 v4, v6, v27
	v_add_f32_e32 v5, v25, v11
	ds_write2_b64 v31, v[2:3], v[4:5] offset0:14 offset1:21
	v_add_f32_e32 v2, v27, v6
	v_sub_f32_e32 v3, v11, v25
	v_sub_f32_e32 v4, v10, v8
	v_add_f32_e32 v5, v9, v13
	ds_write2_b64 v31, v[2:3], v[4:5] offset0:28 offset1:35
	v_sub_f32_e32 v2, v29, v15
	v_add_f32_e32 v3, v12, v7
	v_sub_f32_e32 v5, v64, v210
	v_sub_f32_e32 v7, v212, v126
	ds_write_b64 v31, v[2:3] offset:336
	v_sub_f32_e32 v2, v78, v74
	v_sub_f32_e32 v6, v65, v211
	;; [unrolled: 1-line block ×3, first 2 shown]
	v_add_f32_e32 v15, v7, v5
	v_sub_f32_e32 v3, v79, v75
	v_sub_f32_e32 v10, v216, v218
	;; [unrolled: 1-line block ×6, first 2 shown]
	v_add_f32_e32 v15, v15, v2
	v_add_f32_e32 v2, v8, v6
	v_sub_f32_e32 v19, v8, v6
	v_mad_legacy_u16 v4, v62, 49, v63
	v_sub_f32_e32 v9, v217, v216
	v_sub_f32_e32 v11, v218, v217
	;; [unrolled: 1-line block ×6, first 2 shown]
	v_add_f32_e32 v20, v2, v3
	v_mov_b32_e32 v21, v16
	v_mov_b32_e32 v22, v17
	v_mul_f32_e32 v2, 0x3f4a47b2, v10
	v_mul_f32_e32 v3, 0x3f4a47b2, v13
	;; [unrolled: 1-line block ×4, first 2 shown]
	v_fmac_f32_e32 v21, 0xbf955555, v214
	v_fmac_f32_e32 v22, 0xbf955555, v215
	v_lshlrev_b32_e32 v27, 3, v4
	v_fma_f32 v4, v9, s17, -v2
	v_fmac_f32_e32 v2, 0x3d64c772, v11
	v_fma_f32 v18, v12, s17, -v3
	v_fmac_f32_e32 v3, 0x3d64c772, v14
	v_fma_f32 v19, v5, s3, -v10
	v_fmac_f32_e32 v10, 0x3eae86e6, v7
	v_fma_f32 v23, v6, s3, -v13
	v_fmac_f32_e32 v13, 0x3eae86e6, v8
	v_add_f32_e32 v24, v2, v21
	v_add_f32_e32 v25, v3, v22
	v_fmac_f32_e32 v10, 0x3ee1c552, v15
	v_fmac_f32_e32 v13, 0x3ee1c552, v20
	v_add_f32_e32 v2, v13, v24
	v_sub_f32_e32 v3, v25, v10
	ds_write2_b64 v27, v[16:17], v[2:3] offset1:7
	v_mul_f32_e32 v2, 0x3d64c772, v11
	v_fma_f32 v2, v9, s2, -v2
	v_mul_f32_e32 v3, 0x3d64c772, v14
	v_mul_f32_e32 v9, 0xbf5ff5aa, v5
	;; [unrolled: 1-line block ×3, first 2 shown]
	v_fma_f32 v3, v12, s2, -v3
	v_fmac_f32_e32 v9, 0xbeae86e6, v7
	v_fmac_f32_e32 v6, 0xbeae86e6, v8
	v_add_f32_e32 v7, v2, v21
	v_add_f32_e32 v8, v4, v21
	;; [unrolled: 1-line block ×4, first 2 shown]
	v_fmac_f32_e32 v19, 0x3ee1c552, v15
	v_fmac_f32_e32 v9, 0x3ee1c552, v15
	;; [unrolled: 1-line block ×4, first 2 shown]
	v_add_f32_e32 v2, v6, v8
	v_sub_f32_e32 v3, v12, v9
	v_sub_f32_e32 v4, v7, v23
	v_add_f32_e32 v5, v19, v11
	ds_write2_b64 v27, v[2:3], v[4:5] offset0:14 offset1:21
	v_add_f32_e32 v2, v23, v7
	v_sub_f32_e32 v3, v11, v19
	v_sub_f32_e32 v4, v8, v6
	v_add_f32_e32 v5, v9, v12
	ds_write2_b64 v27, v[2:3], v[4:5] offset0:28 offset1:35
	v_sub_f32_e32 v2, v24, v13
	v_add_f32_e32 v3, v10, v25
	v_sub_f32_e32 v5, v60, v144
	v_sub_f32_e32 v7, v138, v86
	ds_write_b64 v27, v[2:3] offset:336
	v_sub_f32_e32 v2, v58, v140
	v_sub_f32_e32 v6, v61, v145
	;; [unrolled: 1-line block ×3, first 2 shown]
	v_add_f32_e32 v15, v7, v5
	v_sub_f32_e32 v3, v59, v141
	v_sub_f32_e32 v10, v142, v146
	;; [unrolled: 1-line block ×6, first 2 shown]
	v_add_f32_e32 v15, v15, v2
	v_add_f32_e32 v2, v8, v6
	v_sub_f32_e32 v17, v8, v6
	v_mad_legacy_u16 v4, v50, 49, v51
	v_sub_f32_e32 v9, v143, v142
	v_sub_f32_e32 v11, v146, v143
	;; [unrolled: 1-line block ×6, first 2 shown]
	v_add_f32_e32 v18, v2, v3
	v_mov_b32_e32 v19, v0
	v_mov_b32_e32 v20, v1
	v_mul_f32_e32 v2, 0x3f4a47b2, v10
	v_mul_f32_e32 v3, 0x3f4a47b2, v13
	;; [unrolled: 1-line block ×4, first 2 shown]
	v_fmac_f32_e32 v19, 0xbf955555, v147
	v_fmac_f32_e32 v20, 0xbf955555, v148
	v_lshlrev_b32_e32 v24, 3, v4
	v_fma_f32 v4, v9, s17, -v2
	v_fmac_f32_e32 v2, 0x3d64c772, v11
	v_fma_f32 v16, v12, s17, -v3
	v_fmac_f32_e32 v3, 0x3d64c772, v14
	v_fma_f32 v17, v5, s3, -v10
	v_fmac_f32_e32 v10, 0x3eae86e6, v7
	v_fma_f32 v21, v6, s3, -v13
	v_fmac_f32_e32 v13, 0x3eae86e6, v8
	v_add_f32_e32 v22, v2, v19
	v_add_f32_e32 v23, v3, v20
	v_fmac_f32_e32 v10, 0x3ee1c552, v15
	v_fmac_f32_e32 v13, 0x3ee1c552, v18
	v_add_f32_e32 v2, v13, v22
	v_sub_f32_e32 v3, v23, v10
	ds_write2_b64 v24, v[0:1], v[2:3] offset1:7
	v_mul_f32_e32 v0, 0x3d64c772, v11
	v_fma_f32 v0, v9, s2, -v0
	v_mul_f32_e32 v1, 0x3d64c772, v14
	v_mul_f32_e32 v9, 0xbf5ff5aa, v5
	;; [unrolled: 1-line block ×3, first 2 shown]
	v_fma_f32 v1, v12, s2, -v1
	v_fmac_f32_e32 v9, 0xbeae86e6, v7
	v_fmac_f32_e32 v6, 0xbeae86e6, v8
	v_add_f32_e32 v2, v0, v19
	v_add_f32_e32 v7, v4, v19
	;; [unrolled: 1-line block ×4, first 2 shown]
	v_fmac_f32_e32 v17, 0x3ee1c552, v15
	v_fmac_f32_e32 v21, 0x3ee1c552, v18
	;; [unrolled: 1-line block ×4, first 2 shown]
	v_sub_f32_e32 v0, v2, v21
	v_add_f32_e32 v1, v17, v3
	v_add_f32_e32 v4, v6, v7
	v_sub_f32_e32 v5, v8, v9
	v_mad_u64_u32 v[168:169], s[6:7], v40, 48, s[10:11]
	scratch_store_dword off, v31, off offset:64 ; 4-byte Folded Spill
	scratch_store_dword off, v27, off offset:24 ; 4-byte Folded Spill
	v_add_f32_e32 v2, v21, v2
	v_sub_f32_e32 v3, v3, v17
	v_sub_f32_e32 v6, v7, v6
	v_add_f32_e32 v7, v9, v8
	v_sub_f32_e32 v12, v22, v13
	v_add_f32_e32 v13, v10, v23
	ds_write2_b64 v24, v[4:5], v[0:1] offset0:14 offset1:21
	ds_write2_b64 v24, v[2:3], v[6:7] offset0:28 offset1:35
	ds_write_b64 v24, v[12:13] offset:336
	s_waitcnt lgkmcnt(0)
	; wave barrier
	s_waitcnt lgkmcnt(0)
	global_load_dwordx4 v[74:77], v[168:169], off offset:336
	global_load_dwordx4 v[62:65], v[168:169], off offset:368
	s_movk_i32 s6, 0x4f
	ds_read2_b64 v[0:3], v253 offset0:174 offset1:223
	v_mul_lo_u16_sdwa v4, v34, s6 dst_sel:DWORD dst_unused:UNUSED_PAD src0_sel:BYTE_0 src1_sel:DWORD
	v_sub_u16_sdwa v5, v34, v4 dst_sel:DWORD dst_unused:UNUSED_PAD src0_sel:DWORD src1_sel:BYTE_1
	v_lshrrev_b16_e32 v5, 1, v5
	v_and_b32_e32 v5, 0x7f, v5
	v_add_u16_sdwa v4, v5, v4 dst_sel:DWORD dst_unused:UNUSED_PAD src0_sel:DWORD src1_sel:BYTE_1
	v_accvgpr_write_b32 a23, v24
	global_load_dwordx4 v[84:87], v[168:169], off offset:352
	v_accvgpr_write_b32 a247, v42
	v_mov_b32_e32 v57, v250
	v_mov_b32_e32 v67, v253
	;; [unrolled: 1-line block ×3, first 2 shown]
	s_waitcnt vmcnt(2) lgkmcnt(0)
	v_mul_f32_e32 v5, v1, v77
	v_fma_f32 v24, v0, v76, -v5
	v_mul_f32_e32 v141, v0, v77
	v_mul_f32_e32 v0, v3, v77
	v_fma_f32 v71, v2, v76, -v0
	v_lshrrev_b16_e32 v0, 5, v4
	v_mul_lo_u16_e32 v0, 49, v0
	v_sub_u16_e32 v0, v34, v0
	v_and_b32_e32 v68, 0xff, v0
	v_mad_u64_u32 v[4:5], s[8:9], v68, 48, s[10:11]
	global_load_dwordx4 v[14:17], v[4:5], off offset:336
	v_mul_f32_e32 v35, v2, v77
	v_fmac_f32_e32 v141, v1, v76
	v_fmac_f32_e32 v35, v3, v76
	ds_read2_b64 v[0:3], v185 offset0:10 offset1:59
	s_waitcnt vmcnt(2)
	v_accvgpr_write_b32 a231, v65
	v_accvgpr_write_b32 a230, v64
	;; [unrolled: 1-line block ×4, first 2 shown]
	s_waitcnt lgkmcnt(0)
	v_mul_f32_e32 v6, v1, v65
	v_fma_f32 v25, v0, v64, -v6
	v_mul_f32_e32 v145, v0, v65
	v_mul_f32_e32 v0, v3, v65
	;; [unrolled: 1-line block ×3, first 2 shown]
	v_fmac_f32_e32 v145, v1, v64
	v_fma_f32 v23, v2, v64, -v0
	v_fmac_f32_e32 v37, v3, v64
	ds_read2_b64 v[0:3], v254 offset0:136 offset1:185
	s_waitcnt lgkmcnt(0)
	v_mul_f32_e32 v6, v1, v75
	v_fma_f32 v33, v0, v74, -v6
	v_mul_f32_e32 v44, v0, v75
	v_fmac_f32_e32 v44, v1, v74
	v_add_f32_e32 v220, v33, v23
	v_add_f32_e32 v228, v44, v37
	s_waitcnt vmcnt(0)
	v_mul_f32_e32 v0, v3, v15
	v_mul_f32_e32 v31, v2, v15
	v_fma_f32 v69, v2, v14, -v0
	v_fmac_f32_e32 v31, v3, v14
	ds_read2_b64 v[0:3], v252 offset0:54 offset1:103
	global_load_dwordx4 v[196:199], v[4:5], off offset:352
	global_load_dwordx4 v[10:13], v[4:5], off offset:368
	v_accvgpr_write_b32 a149, v17
	v_accvgpr_write_b32 a148, v16
	;; [unrolled: 1-line block ×3, first 2 shown]
	s_waitcnt lgkmcnt(0)
	v_mul_f32_e32 v6, v1, v85
	v_fma_f32 v150, v0, v84, -v6
	v_mul_f32_e32 v151, v0, v85
	v_fmac_f32_e32 v151, v1, v84
	v_accvgpr_write_b32 a146, v14
	s_waitcnt vmcnt(1)
	v_mul_f32_e32 v0, v3, v197
	v_fma_f32 v126, v2, v196, -v0
	v_mul_lo_u16_sdwa v0, v32, s6 dst_sel:DWORD dst_unused:UNUSED_PAD src0_sel:BYTE_0 src1_sel:DWORD
	v_sub_u16_sdwa v1, v32, v0 dst_sel:DWORD dst_unused:UNUSED_PAD src0_sel:DWORD src1_sel:BYTE_1
	v_lshrrev_b16_e32 v1, 1, v1
	v_and_b32_e32 v1, 0x7f, v1
	v_add_u16_sdwa v0, v1, v0 dst_sel:DWORD dst_unused:UNUSED_PAD src0_sel:DWORD src1_sel:BYTE_1
	v_lshrrev_b16_e32 v0, 5, v0
	v_mul_lo_u16_e32 v0, 49, v0
	v_mul_f32_e32 v127, v2, v197
	v_sub_u16_e32 v0, v32, v0
	v_fmac_f32_e32 v127, v3, v196
	v_and_b32_e32 v6, 0xff, v0
	ds_read2_b64 v[0:3], v184 offset0:16 offset1:65
	v_accvgpr_write_b32 a9, v6
	s_waitcnt vmcnt(0)
	v_accvgpr_write_b32 a137, v13
	v_accvgpr_write_b32 a136, v12
	;; [unrolled: 1-line block ×3, first 2 shown]
	s_waitcnt lgkmcnt(0)
	v_mul_f32_e32 v4, v1, v17
	v_fma_f32 v134, v0, v16, -v4
	v_mad_u64_u32 v[4:5], s[8:9], v6, 48, s[10:11]
	global_load_dwordx4 v[6:9], v[4:5], off offset:336
	v_mul_f32_e32 v135, v0, v17
	v_fmac_f32_e32 v135, v1, v16
	v_accvgpr_write_b32 a134, v10
	s_mov_b64 s[8:9], 0x1ce0
	v_accvgpr_mov_b32 a255, a137
	v_accvgpr_mov_b32 a254, a136
	;; [unrolled: 1-line block ×4, first 2 shown]
	s_waitcnt vmcnt(0)
	v_mul_f32_e32 v0, v3, v9
	v_fma_f32 v116, v2, v8, -v0
	v_mul_lo_u16_sdwa v0, v30, s6 dst_sel:DWORD dst_unused:UNUSED_PAD src0_sel:BYTE_0 src1_sel:DWORD
	v_sub_u16_sdwa v1, v30, v0 dst_sel:DWORD dst_unused:UNUSED_PAD src0_sel:DWORD src1_sel:BYTE_1
	v_lshrrev_b16_e32 v1, 1, v1
	v_and_b32_e32 v1, 0x7f, v1
	v_add_u16_sdwa v0, v1, v0 dst_sel:DWORD dst_unused:UNUSED_PAD src0_sel:DWORD src1_sel:BYTE_1
	v_lshrrev_b16_e32 v0, 5, v0
	v_mul_lo_u16_e32 v0, 49, v0
	v_mul_f32_e32 v117, v2, v9
	v_sub_u16_e32 v0, v30, v0
	v_fmac_f32_e32 v117, v3, v8
	v_and_b32_e32 v70, 0xff, v0
	ds_read2_b64 v[0:3], v185 offset0:108 offset1:157
	v_mov_b64_e32 v[16:17], v[8:9]
	v_mov_b64_e32 v[14:15], v[6:7]
	v_accvgpr_write_b32 a129, v17
	v_accvgpr_write_b32 a128, v16
	s_waitcnt lgkmcnt(0)
	v_mul_f32_e32 v6, v1, v13
	v_mul_f32_e32 v147, v0, v13
	v_fma_f32 v146, v0, v12, -v6
	v_fmac_f32_e32 v147, v1, v12
	v_mad_u64_u32 v[6:7], s[6:7], v70, 48, s[10:11]
	global_load_dwordx4 v[244:247], v[4:5], off offset:368
	global_load_dwordx4 v[10:13], v[6:7], off offset:336
	;; [unrolled: 1-line block ×3, first 2 shown]
	v_accvgpr_write_b32 a127, v15
	v_accvgpr_write_b32 a126, v14
	s_movk_i32 s6, 0x4e5f
	s_waitcnt vmcnt(2)
	v_mul_f32_e32 v0, v3, v247
	v_mul_f32_e32 v119, v2, v247
	v_fma_f32 v118, v2, v246, -v0
	v_fmac_f32_e32 v119, v3, v246
	ds_read2_b64 v[0:3], v250 offset0:106 offset1:155
	s_waitcnt vmcnt(1)
	v_accvgpr_write_b32 a117, v13
	v_accvgpr_write_b32 a116, v12
	v_accvgpr_write_b32 a115, v11
	v_accvgpr_write_b32 a114, v10
	s_waitcnt lgkmcnt(0)
	v_mul_f32_e32 v8, v1, v15
	v_fma_f32 v124, v0, v14, -v8
	v_mul_f32_e32 v125, v0, v15
	v_mul_f32_e32 v0, v3, v11
	;; [unrolled: 1-line block ×3, first 2 shown]
	v_fmac_f32_e32 v125, v1, v14
	v_fma_f32 v22, v2, v10, -v0
	v_fmac_f32_e32 v34, v3, v10
	ds_read2_b64 v[0:3], v252 offset0:152 offset1:201
	global_load_dwordx4 v[48:51], v[6:7], off offset:352
	global_load_dwordx4 v[14:17], v[6:7], off offset:368
	v_add_f32_e32 v79, v124, v118
	v_add_f32_e32 v144, v125, v119
	s_waitcnt vmcnt(2)
	v_accvgpr_write_b32 a239, v61
	s_waitcnt lgkmcnt(0)
	v_mul_f32_e32 v4, v1, v59
	v_fma_f32 v170, v0, v58, -v4
	v_mul_f32_e32 v171, v0, v59
	v_fmac_f32_e32 v171, v1, v58
	v_accvgpr_write_b32 a238, v60
	v_accvgpr_write_b32 a237, v59
	;; [unrolled: 1-line block ×3, first 2 shown]
	s_waitcnt vmcnt(1)
	v_mul_f32_e32 v0, v3, v49
	v_fma_f32 v142, v2, v48, -v0
	v_mul_u32_u24_sdwa v0, v26, s6 dst_sel:DWORD dst_unused:UNUSED_PAD src0_sel:WORD_0 src1_sel:DWORD
	v_sub_u16_sdwa v1, v26, v0 dst_sel:DWORD dst_unused:UNUSED_PAD src0_sel:DWORD src1_sel:WORD_1
	v_lshrrev_b16_e32 v1, 1, v1
	v_add_u16_sdwa v0, v1, v0 dst_sel:DWORD dst_unused:UNUSED_PAD src0_sel:DWORD src1_sel:WORD_1
	v_lshrrev_b16_e32 v0, 5, v0
	v_mul_lo_u16_e32 v0, 49, v0
	v_sub_u16_e32 v1, v26, v0
	v_mul_f32_e32 v143, v2, v49
	v_mul_lo_u16_e32 v0, 48, v1
	v_accvgpr_write_b32 a10, v1
	v_mov_b32_e32 v1, v187
	v_fmac_f32_e32 v143, v3, v48
	v_lshl_add_u64 v[4:5], s[10:11], 0, v[0:1]
	ds_read2_b64 v[0:3], v184 offset0:114 offset1:163
	s_waitcnt vmcnt(0)
	v_accvgpr_write_b32 a133, v17
	v_accvgpr_write_b32 a132, v16
	;; [unrolled: 1-line block ×4, first 2 shown]
	s_waitcnt lgkmcnt(0)
	v_mul_f32_e32 v6, v1, v13
	v_fma_f32 v148, v0, v12, -v6
	global_load_dwordx4 v[6:9], v[4:5], off offset:336
	v_mul_f32_e32 v149, v0, v13
	v_fmac_f32_e32 v149, v1, v12
	v_accvgpr_write_b32 a197, v51
	v_accvgpr_write_b32 a196, v50
	;; [unrolled: 1-line block ×4, first 2 shown]
	v_mov_b32_e32 v48, v22
	v_accvgpr_mov_b32 a201, a133
	v_accvgpr_mov_b32 a200, a132
	;; [unrolled: 1-line block ×4, first 2 shown]
	s_waitcnt vmcnt(0)
	v_mul_f32_e32 v0, v3, v9
	v_fma_f32 v132, v2, v8, -v0
	v_mul_u32_u24_sdwa v0, v28, s6 dst_sel:DWORD dst_unused:UNUSED_PAD src0_sel:WORD_0 src1_sel:DWORD
	v_sub_u16_sdwa v1, v28, v0 dst_sel:DWORD dst_unused:UNUSED_PAD src0_sel:DWORD src1_sel:WORD_1
	v_lshrrev_b16_e32 v1, 1, v1
	v_add_u16_sdwa v0, v1, v0 dst_sel:DWORD dst_unused:UNUSED_PAD src0_sel:DWORD src1_sel:WORD_1
	v_lshrrev_b16_e32 v0, 5, v0
	v_mul_lo_u16_e32 v0, 49, v0
	v_sub_u16_e32 v1, v28, v0
	v_mul_f32_e32 v133, v2, v9
	v_mov_b64_e32 v[20:21], v[8:9]
	v_mul_lo_u16_e32 v0, 48, v1
	v_accvgpr_write_b32 a7, v1
	v_mov_b32_e32 v1, v187
	v_fmac_f32_e32 v133, v3, v8
	v_mov_b64_e32 v[18:19], v[6:7]
	v_lshl_add_u64 v[6:7], s[10:11], 0, v[0:1]
	ds_read2_b64 v[0:3], v185 offset0:206 offset1:255
	v_accvgpr_write_b32 a121, v21
	v_accvgpr_write_b32 a120, v20
	;; [unrolled: 1-line block ×4, first 2 shown]
	s_waitcnt lgkmcnt(0)
	v_mul_f32_e32 v8, v1, v17
	v_mul_f32_e32 v153, v0, v17
	v_fma_f32 v152, v0, v16, -v8
	v_fmac_f32_e32 v153, v1, v16
	global_load_dwordx4 v[14:17], v[4:5], off offset:368
	global_load_dwordx4 v[10:13], v[6:7], off offset:336
	;; [unrolled: 1-line block ×3, first 2 shown]
	s_waitcnt vmcnt(2)
	v_mul_f32_e32 v0, v3, v17
	v_mul_f32_e32 v137, v2, v17
	v_fma_f32 v136, v2, v16, -v0
	v_fmac_f32_e32 v137, v3, v16
	ds_read2_b64 v[0:3], v253 offset0:76 offset1:125
	s_waitcnt vmcnt(1)
	v_accvgpr_write_b32 a113, v13
	v_accvgpr_write_b32 a112, v12
	;; [unrolled: 1-line block ×4, first 2 shown]
	s_waitcnt lgkmcnt(0)
	v_mul_f32_e32 v8, v1, v19
	v_fma_f32 v138, v0, v18, -v8
	v_mul_f32_e32 v139, v0, v19
	v_mul_f32_e32 v0, v3, v11
	;; [unrolled: 1-line block ×3, first 2 shown]
	v_fmac_f32_e32 v139, v1, v18
	v_fma_f32 v18, v2, v10, -v0
	v_fmac_f32_e32 v46, v3, v10
	ds_read2_b64 v[0:3], v41 offset0:84 offset1:133
	v_add_f32_e32 v231, v138, v136
	v_add_f32_e32 v236, v139, v137
	v_accvgpr_write_b32 a125, v17
	v_accvgpr_write_b32 a124, v16
	s_waitcnt lgkmcnt(0)
	v_mul_f32_e32 v8, v3, v85
	v_fma_f32 v212, v2, v84, -v8
	v_mul_f32_e32 v213, v2, v85
	v_mul_f32_e32 v2, v1, v13
	;; [unrolled: 1-line block ×3, first 2 shown]
	v_fmac_f32_e32 v213, v3, v84
	v_fma_f32 v184, v0, v12, -v2
	v_fmac_f32_e32 v95, v1, v12
	ds_read2_b64 v[0:3], v43 offset0:122 offset1:171
	global_load_dwordx4 v[26:29], v[6:7], off offset:352
	global_load_dwordx4 v[8:11], v[6:7], off offset:368
	ds_read2_b64 v[88:91], v254 offset0:38 offset1:87
	ds_read2_b64 v[80:83], v251 offset0:100 offset1:149
	v_mov_b32_e32 v13, v249
	s_waitcnt vmcnt(2) lgkmcnt(2)
	v_mul_f32_e32 v4, v1, v53
	v_fma_f32 v200, v0, v52, -v4
	v_mul_f32_e32 v201, v0, v53
	v_fmac_f32_e32 v201, v1, v52
	s_waitcnt lgkmcnt(1)
	v_mul_f32_e32 v240, v90, v75
	v_fmac_f32_e32 v240, v91, v74
	s_waitcnt lgkmcnt(0)
	v_mul_f32_e32 v217, v80, v63
	v_add_f32_e32 v248, v240, v145
	v_fmac_f32_e32 v217, v81, v62
	v_add_f32_e32 v229, v35, v217
	v_mov_b32_e32 v12, v225
	ds_read2_b64 v[206:209], v224 offset0:70 offset1:119
	v_accvgpr_write_b32 a123, v15
	v_accvgpr_write_b32 a122, v14
	v_add_f32_e32 v253, v48, v152
	v_mov_b32_e32 v64, v18
	v_accvgpr_write_b32 a185, v55
	v_accvgpr_write_b32 a184, v54
	;; [unrolled: 1-line block ×5, first 2 shown]
	s_waitcnt vmcnt(1)
	v_mul_f32_e32 v0, v3, v27
	v_mul_f32_e32 v155, v2, v27
	v_fma_f32 v154, v2, v26, -v0
	v_fmac_f32_e32 v155, v3, v26
	ds_read2_b64 v[0:3], v225 offset0:92 offset1:141
	s_waitcnt vmcnt(0)
	v_accvgpr_write_b32 a157, v11
	v_accvgpr_write_b32 a156, v10
	;; [unrolled: 1-line block ×4, first 2 shown]
	s_waitcnt lgkmcnt(0)
	v_mul_f32_e32 v4, v1, v87
	v_fma_f32 v233, v0, v86, -v4
	v_mul_f32_e32 v234, v0, v87
	v_mul_f32_e32 v0, v3, v87
	v_fma_f32 v214, v2, v86, -v0
	v_mul_f32_e32 v215, v2, v87
	v_mul_f32_e32 v0, v91, v75
	v_fmac_f32_e32 v234, v1, v86
	v_fmac_f32_e32 v215, v3, v86
	v_fma_f32 v42, v90, v74, -v0
	ds_read2_b64 v[0:3], v249 offset0:130 offset1:179
	v_add_f32_e32 v243, v42, v25
	v_add_f32_e32 v239, v212, v233
	;; [unrolled: 1-line block ×4, first 2 shown]
	s_waitcnt lgkmcnt(0)
	v_mul_f32_e32 v4, v3, v63
	v_fma_f32 v241, v2, v62, -v4
	v_mul_f32_e32 v242, v2, v63
	v_fmac_f32_e32 v242, v3, v62
	v_mul_f32_e32 v2, v81, v63
	v_add_f32_e32 v187, v24, v241
	v_fma_f32 v216, v80, v62, -v2
	v_add_f32_e32 v2, v187, v243
	v_add_f32_e32 v249, v141, v242
	;; [unrolled: 1-line block ×11, first 2 shown]
	v_mul_f32_e32 v2, v1, v29
	v_mul_f32_e32 v81, v0, v29
	v_fma_f32 v94, v0, v28, -v2
	v_fmac_f32_e32 v81, v1, v28
	ds_read_b64 v[0:1], v186 offset:18816
	ds_read2_b64 v[4:7], v186 offset1:49
	v_add_f32_e32 v45, v154, v94
	v_add_f32_e32 v211, v155, v81
	v_accvgpr_write_b32 a153, v29
	s_waitcnt lgkmcnt(1)
	v_mul_f32_e32 v2, v1, v11
	v_mul_f32_e32 v91, v0, v11
	v_fma_f32 v90, v0, v10, -v2
	v_fmac_f32_e32 v91, v1, v10
	ds_read2_b64 v[0:3], v224 offset0:168 offset1:217
	s_waitcnt lgkmcnt(1)
	v_add_f32_e32 v20, v223, v6
	v_add_f32_e32 v202, v18, v90
	;; [unrolled: 1-line block ×3, first 2 shown]
	v_accvgpr_write_b32 a152, v28
	s_waitcnt lgkmcnt(0)
	v_mul_f32_e32 v6, v3, v9
	v_fma_f32 v204, v2, v8, -v6
	v_mul_f32_e32 v205, v2, v9
	v_fmac_f32_e32 v205, v3, v8
	v_add_f32_e32 v203, v184, v204
	v_add_f32_e32 v2, v203, v202
	;; [unrolled: 1-line block ×7, first 2 shown]
	v_mul_f32_e32 v2, v1, v15
	v_mul_f32_e32 v89, v0, v15
	v_add_f32_e32 v38, v80, v88
	v_fma_f32 v88, v0, v14, -v2
	v_fmac_f32_e32 v89, v1, v14
	ds_read2_b64 v[0:3], v13 offset0:32 offset1:81
	v_add_f32_e32 v232, v132, v88
	v_add_f32_e32 v237, v133, v89
	v_accvgpr_read_b32 v8, a130
	v_accvgpr_read_b32 v9, a131
	s_waitcnt lgkmcnt(0)
	v_mul_f32_e32 v6, v3, v55
	v_fma_f32 v218, v2, v54, -v6
	v_mul_f32_e32 v219, v2, v55
	v_mul_f32_e32 v2, v1, v51
	v_fmac_f32_e32 v219, v3, v54
	v_fma_f32 v251, v0, v50, -v2
	v_mul_f32_e32 v252, v0, v51
	v_add_f32_e32 v235, v200, v218
	v_add_f32_e32 v0, v232, v231
	;; [unrolled: 1-line block ×6, first 2 shown]
	ds_read2_b64 v[14:17], v186 offset0:196 offset1:245
	v_mul_f32_e32 v0, v209, v9
	v_mul_f32_e32 v6, v208, v9
	v_fma_f32 v255, v208, v8, -v0
	v_fmac_f32_e32 v6, v209, v8
	v_accvgpr_write_b32 a151, v27
	v_accvgpr_write_b32 a150, v26
	v_fmac_f32_e32 v252, v1, v50
	v_add_f32_e32 v254, v148, v255
	v_add_f32_e32 v28, v34, v153
	;; [unrolled: 1-line block ×7, first 2 shown]
	v_mov_b32_e32 v63, v33
	v_add_f32_e32 v33, v30, v1
	v_add_f32_e32 v32, v22, v3
	s_waitcnt lgkmcnt(0)
	v_add_f32_e32 v18, v226, v16
	v_add_f32_e32 v19, v227, v17
	;; [unrolled: 1-line block ×4, first 2 shown]
	ds_read2_b64 v[14:17], v12 offset0:190 offset1:239
	v_accvgpr_read_b32 v10, a132
	v_accvgpr_read_b32 v11, a133
	;; [unrolled: 1-line block ×3, first 2 shown]
	v_mul_f32_e32 v8, v207, v245
	s_waitcnt lgkmcnt(0)
	v_mul_f32_e32 v10, v17, v61
	v_mul_f32_e32 v9, v206, v245
	v_mov_b32_e32 v54, v12
	v_fma_f32 v12, v16, v60, -v10
	v_mul_f32_e32 v11, v16, v61
	v_mul_f32_e32 v16, v15, v199
	v_accvgpr_read_b32 v1, a135
	v_mov_b32_e32 v62, v23
	v_fma_f32 v13, v206, v244, -v8
	v_fmac_f32_e32 v9, v207, v244
	v_fma_f32 v23, v14, v198, -v16
	v_mul_f32_e32 v72, v14, v199
	v_mul_f32_e32 v14, v83, v1
	ds_read2_b64 v[206:209], v186 offset0:98 offset1:147
	v_fma_f32 v73, v82, v0, -v14
	v_mul_f32_e32 v78, v82, v1
	v_add_f32_e32 v82, v116, v13
	v_fmac_f32_e32 v11, v17, v60
	v_fmac_f32_e32 v78, v83, v0
	v_add_f32_e32 v83, v170, v12
	v_add_f32_e32 v14, v82, v79
	;; [unrolled: 1-line block ×7, first 2 shown]
	v_fmac_f32_e32 v72, v15, v198
	v_accvgpr_read_b32 v2, a136
	v_accvgpr_read_b32 v3, a137
	s_waitcnt lgkmcnt(0)
	v_add_f32_e32 v14, v140, v208
	v_add_f32_e32 v15, v10, v209
	;; [unrolled: 1-line block ×13, first 2 shown]
	v_sub_f32_e32 v24, v24, v241
	v_sub_f32_e32 v43, v141, v242
	;; [unrolled: 1-line block ×3, first 2 shown]
	v_add_f32_e32 v17, v41, v207
	v_sub_f32_e32 v25, v42, v25
	v_sub_f32_e32 v42, v240, v145
	;; [unrolled: 1-line block ×5, first 2 shown]
	v_add_f32_e32 v239, v141, v24
	v_add_f32_e32 v4, v36, v4
	;; [unrolled: 1-line block ×3, first 2 shown]
	v_sub_f32_e32 v233, v248, v250
	v_sub_f32_e32 v240, v141, v24
	;; [unrolled: 1-line block ×4, first 2 shown]
	v_add_f32_e32 v239, v239, v25
	v_add_f32_e32 v24, v145, v43
	v_sub_f32_e32 v25, v145, v43
	v_accvgpr_write_b32 a130, v244
	v_add_f32_e32 v16, v7, v206
	v_sub_f32_e32 v206, v187, v243
	v_sub_f32_e32 v213, v249, v248
	;; [unrolled: 1-line block ×5, first 2 shown]
	v_add_f32_e32 v42, v24, v42
	v_mov_b32_e32 v242, v4
	v_mov_b32_e32 v243, v5
	v_mul_f32_e32 v24, 0x3f4a47b2, v207
	v_mul_f32_e32 v207, 0x3f4a47b2, v233
	;; [unrolled: 1-line block ×4, first 2 shown]
	v_accvgpr_write_b32 a131, v245
	v_accvgpr_write_b32 a132, v246
	;; [unrolled: 1-line block ×3, first 2 shown]
	v_fmac_f32_e32 v242, 0xbf955555, v36
	v_fmac_f32_e32 v243, 0xbf955555, v56
	v_fma_f32 v244, v206, s17, -v24
	v_fmac_f32_e32 v24, 0x3d64c772, v212
	v_fma_f32 v245, v213, s17, -v207
	;; [unrolled: 2-line block ×4, first 2 shown]
	v_fmac_f32_e32 v240, 0x3eae86e6, v145
	v_add_f32_e32 v248, v24, v242
	v_add_f32_e32 v207, v207, v243
	v_fmac_f32_e32 v233, 0x3ee1c552, v239
	v_fmac_f32_e32 v240, 0x3ee1c552, v42
	v_add_f32_e32 v24, v240, v248
	v_sub_f32_e32 v25, v207, v233
	s_waitcnt lgkmcnt(0)
	; wave barrier
	ds_write2_b64 v186, v[4:5], v[24:25] offset1:49
	v_mul_f32_e32 v4, 0x3d64c772, v212
	v_fma_f32 v4, v206, s2, -v4
	v_mul_f32_e32 v5, 0x3d64c772, v234
	v_mul_f32_e32 v206, 0xbf5ff5aa, v241
	;; [unrolled: 1-line block ×3, first 2 shown]
	v_fma_f32 v5, v213, s2, -v5
	v_fmac_f32_e32 v206, 0xbeae86e6, v141
	v_fmac_f32_e32 v43, 0xbeae86e6, v145
	v_add_f32_e32 v141, v4, v242
	v_add_f32_e32 v145, v244, v242
	;; [unrolled: 1-line block ×4, first 2 shown]
	v_fmac_f32_e32 v246, 0x3ee1c552, v239
	v_fmac_f32_e32 v206, 0x3ee1c552, v239
	;; [unrolled: 1-line block ×4, first 2 shown]
	v_add_f32_e32 v4, v43, v145
	v_sub_f32_e32 v5, v213, v206
	v_sub_f32_e32 v24, v141, v247
	v_add_f32_e32 v25, v246, v212
	ds_write2_b64 v186, v[4:5], v[24:25] offset0:98 offset1:147
	v_add_f32_e32 v4, v247, v141
	v_sub_f32_e32 v5, v212, v246
	v_sub_f32_e32 v24, v145, v43
	v_add_f32_e32 v25, v206, v213
	ds_write2_b64 v186, v[4:5], v[24:25] offset0:196 offset1:245
	v_sub_f32_e32 v4, v248, v240
	v_add_f32_e32 v5, v233, v207
	ds_write2_b64 v66, v[4:5], v[20:21] offset0:38 offset1:87
	v_sub_f32_e32 v4, v63, v62
	v_sub_f32_e32 v24, v71, v216
	;; [unrolled: 1-line block ×6, first 2 shown]
	v_add_f32_e32 v151, v35, v24
	v_sub_f32_e32 v206, v35, v24
	v_sub_f32_e32 v24, v24, v4
	;; [unrolled: 1-line block ×5, first 2 shown]
	v_add_f32_e32 v151, v151, v4
	v_add_f32_e32 v4, v37, v25
	v_sub_f32_e32 v207, v37, v25
	v_sub_f32_e32 v25, v25, v5
	v_mul_f32_e32 v206, 0xbf08b237, v206
	v_mul_f32_e32 v215, 0xbf5ff5aa, v24
	v_sub_f32_e32 v42, v221, v220
	v_sub_f32_e32 v44, v222, v221
	;; [unrolled: 1-line block ×5, first 2 shown]
	v_add_f32_e32 v212, v4, v5
	v_mov_b32_e32 v213, v20
	v_mov_b32_e32 v214, v21
	v_fma_f32 v24, v24, s3, -v206
	v_fmac_f32_e32 v206, 0x3eae86e6, v35
	v_fmac_f32_e32 v215, 0xbeae86e6, v35
	v_mul_f32_e32 v35, 0xbf08b237, v207
	v_mul_f32_e32 v207, 0xbf5ff5aa, v25
	;; [unrolled: 1-line block ×4, first 2 shown]
	v_fmac_f32_e32 v213, 0xbf955555, v223
	v_fmac_f32_e32 v214, 0xbf955555, v225
	v_fma_f32 v25, v25, s3, -v35
	v_fmac_f32_e32 v35, 0x3eae86e6, v37
	v_fmac_f32_e32 v207, 0xbeae86e6, v37
	v_fma_f32 v20, v42, s17, -v4
	v_fmac_f32_e32 v4, 0x3d64c772, v44
	v_fma_f32 v21, v141, s17, -v5
	v_fmac_f32_e32 v5, 0x3d64c772, v150
	v_add_f32_e32 v37, v4, v213
	v_add_f32_e32 v43, v5, v214
	;; [unrolled: 1-line block ×4, first 2 shown]
	v_fmac_f32_e32 v206, 0x3ee1c552, v151
	v_fmac_f32_e32 v35, 0x3ee1c552, v212
	;; [unrolled: 1-line block ×4, first 2 shown]
	v_add_f32_e32 v4, v35, v37
	v_sub_f32_e32 v5, v43, v206
	v_add_f32_e32 v20, v207, v145
	v_sub_f32_e32 v21, v216, v215
	ds_write2_b64 v66, v[4:5], v[20:21] offset0:136 offset1:185
	v_mul_f32_e32 v4, 0x3d64c772, v44
	v_mul_f32_e32 v5, 0x3d64c772, v150
	v_fma_f32 v4, v42, s2, -v4
	v_fma_f32 v5, v141, s2, -v5
	v_add_f32_e32 v20, v4, v213
	v_add_f32_e32 v21, v5, v214
	v_fmac_f32_e32 v24, 0x3ee1c552, v151
	v_fmac_f32_e32 v25, 0x3ee1c552, v212
	v_sub_f32_e32 v4, v20, v25
	v_add_f32_e32 v5, v24, v21
	v_add_f32_e32 v20, v25, v20
	v_sub_f32_e32 v21, v21, v24
	ds_write2_b64 v57, v[4:5], v[20:21] offset0:106 offset1:155
	v_sub_f32_e32 v4, v145, v207
	v_add_f32_e32 v5, v215, v216
	v_sub_f32_e32 v20, v37, v35
	v_add_f32_e32 v21, v206, v43
	ds_write2_b64 v67, v[4:5], v[20:21] offset0:76 offset1:125
	v_sub_f32_e32 v20, v134, v73
	v_sub_f32_e32 v23, v23, v126
	;; [unrolled: 1-line block ×8, first 2 shown]
	v_add_f32_e32 v1, v23, v20
	v_sub_f32_e32 v5, v31, v147
	v_sub_f32_e32 v31, v208, v3
	v_sub_f32_e32 v37, v23, v20
	v_sub_f32_e32 v23, v4, v23
	v_sub_f32_e32 v20, v20, v4
	v_add_f32_e32 v1, v1, v4
	v_add_f32_e32 v4, v24, v21
	v_sub_f32_e32 v42, v24, v21
	v_mov_b32_e32 v44, v16
	v_sub_f32_e32 v25, v209, v208
	v_sub_f32_e32 v3, v3, v209
	;; [unrolled: 1-line block ×4, first 2 shown]
	v_add_f32_e32 v43, v4, v5
	v_fmac_f32_e32 v44, 0xbf955555, v7
	v_mov_b32_e32 v7, v17
	v_mul_f32_e32 v4, 0x3f4a47b2, v31
	v_mul_f32_e32 v2, 0x3f4a47b2, v2
	;; [unrolled: 1-line block ×4, first 2 shown]
	v_fmac_f32_e32 v7, 0xbf955555, v41
	v_fma_f32 v41, v25, s17, -v4
	v_fmac_f32_e32 v4, 0x3d64c772, v3
	v_fma_f32 v42, v35, s17, -v2
	;; [unrolled: 2-line block ×4, first 2 shown]
	v_fmac_f32_e32 v37, 0x3eae86e6, v24
	v_lshlrev_b32_e32 v36, 3, v68
	v_add_f32_e32 v78, v4, v44
	v_add_f32_e32 v126, v2, v7
	v_fmac_f32_e32 v31, 0x3ee1c552, v1
	v_fmac_f32_e32 v37, 0x3ee1c552, v43
	v_add_f32_e32 v4, v37, v78
	v_sub_f32_e32 v5, v126, v31
	v_add_u32_e32 v2, 0x1000, v36
	ds_write2_b64 v2, v[16:17], v[4:5] offset0:174 offset1:223
	v_accvgpr_write_b32 a22, v2
	v_mul_f32_e32 v2, 0x3d64c772, v3
	v_mul_f32_e32 v0, 0x3d64c772, v0
	v_mul_f32_e32 v3, 0xbf5ff5aa, v20
	v_mul_f32_e32 v20, 0xbf5ff5aa, v21
	v_fma_f32 v2, v25, s2, -v2
	v_fma_f32 v0, v35, s2, -v0
	v_fmac_f32_e32 v3, 0xbeae86e6, v23
	v_fmac_f32_e32 v20, 0xbeae86e6, v24
	v_add_f32_e32 v2, v2, v44
	v_add_f32_e32 v21, v41, v44
	;; [unrolled: 1-line block ×4, first 2 shown]
	v_fmac_f32_e32 v72, 0x3ee1c552, v1
	v_fmac_f32_e32 v3, 0x3ee1c552, v1
	v_fmac_f32_e32 v73, 0x3ee1c552, v43
	v_fmac_f32_e32 v20, 0x3ee1c552, v43
	v_add_f32_e32 v4, v20, v21
	v_sub_f32_e32 v5, v7, v3
	v_sub_f32_e32 v16, v2, v73
	v_add_f32_e32 v17, v72, v0
	v_add_u32_e32 v1, 0x1800, v36
	ds_write2_b64 v1, v[4:5], v[16:17] offset0:16 offset1:65
	v_add_f32_e32 v4, v73, v2
	v_sub_f32_e32 v5, v0, v72
	v_sub_f32_e32 v16, v21, v20
	v_add_f32_e32 v17, v3, v7
	ds_write2_b64 v1, v[4:5], v[16:17] offset0:114 offset1:163
	v_sub_f32_e32 v0, v124, v118
	v_sub_f32_e32 v2, v116, v13
	;; [unrolled: 1-line block ×5, first 2 shown]
	v_accvgpr_write_b32 a17, v1
	v_sub_f32_e32 v1, v125, v119
	v_add_f32_e32 v16, v4, v2
	v_sub_f32_e32 v17, v4, v2
	v_sub_f32_e32 v20, v0, v4
	v_add_f32_e32 v4, v5, v3
	v_sub_f32_e32 v9, v79, v83
	v_sub_f32_e32 v13, v144, v224
	;; [unrolled: 1-line block ×3, first 2 shown]
	v_add_f32_e32 v0, v16, v0
	v_sub_f32_e32 v16, v5, v3
	v_sub_f32_e32 v21, v1, v5
	;; [unrolled: 1-line block ×3, first 2 shown]
	v_add_f32_e32 v1, v4, v1
	v_mov_b32_e32 v24, v15
	v_accvgpr_read_b32 v4, a9
	v_mov_b32_e32 v42, v36
	v_sub_f32_e32 v7, v82, v79
	v_sub_f32_e32 v11, v83, v82
	;; [unrolled: 1-line block ×4, first 2 shown]
	v_mov_b32_e32 v23, v14
	v_fmac_f32_e32 v24, 0xbf955555, v10
	v_lshlrev_b32_e32 v36, 3, v4
	v_mul_f32_e32 v4, 0x3f4a47b2, v9
	v_mul_f32_e32 v5, 0x3f4a47b2, v13
	;; [unrolled: 1-line block ×4, first 2 shown]
	v_fmac_f32_e32 v23, 0xbf955555, v140
	v_fma_f32 v13, v7, s17, -v4
	v_fmac_f32_e32 v4, 0x3d64c772, v11
	v_fma_f32 v16, v12, s17, -v5
	;; [unrolled: 2-line block ×4, first 2 shown]
	v_fmac_f32_e32 v10, 0x3eae86e6, v21
	v_add_f32_e32 v35, v4, v23
	v_add_f32_e32 v41, v5, v24
	v_fmac_f32_e32 v9, 0x3ee1c552, v0
	v_fmac_f32_e32 v10, 0x3ee1c552, v1
	v_add_f32_e32 v4, v10, v35
	v_sub_f32_e32 v5, v41, v9
	v_add_u32_e32 v43, 0x2000, v36
	ds_write2_b64 v43, v[14:15], v[4:5] offset0:5 offset1:54
	v_mul_f32_e32 v4, 0x3d64c772, v11
	v_mul_f32_e32 v5, 0x3d64c772, v8
	;; [unrolled: 1-line block ×4, first 2 shown]
	v_fma_f32 v4, v7, s2, -v4
	v_fma_f32 v5, v12, s2, -v5
	v_fmac_f32_e32 v2, 0xbeae86e6, v20
	v_fmac_f32_e32 v3, 0xbeae86e6, v21
	v_add_f32_e32 v7, v4, v23
	v_add_f32_e32 v8, v13, v23
	;; [unrolled: 1-line block ×4, first 2 shown]
	v_fmac_f32_e32 v17, 0x3ee1c552, v0
	v_fmac_f32_e32 v2, 0x3ee1c552, v0
	;; [unrolled: 1-line block ×4, first 2 shown]
	v_add_f32_e32 v4, v3, v8
	v_sub_f32_e32 v5, v12, v2
	v_sub_f32_e32 v14, v7, v25
	v_add_f32_e32 v15, v17, v11
	ds_write2_b64 v43, v[4:5], v[14:15] offset0:103 offset1:152
	v_add_f32_e32 v4, v25, v7
	v_sub_f32_e32 v5, v11, v17
	v_sub_f32_e32 v14, v8, v3
	v_add_f32_e32 v15, v2, v12
	ds_write2_b64 v43, v[4:5], v[14:15] offset0:201 offset1:250
	v_sub_f32_e32 v2, v148, v255
	v_sub_f32_e32 v4, v251, v142
	;; [unrolled: 1-line block ×5, first 2 shown]
	v_add_f32_e32 v14, v4, v2
	v_sub_f32_e32 v1, v34, v153
	v_sub_f32_e32 v7, v253, v30
	;; [unrolled: 1-line block ×6, first 2 shown]
	v_add_f32_e32 v14, v14, v0
	v_add_f32_e32 v0, v5, v3
	v_sub_f32_e32 v16, v5, v3
	v_sub_f32_e32 v6, v254, v253
	v_sub_f32_e32 v8, v30, v254
	v_sub_f32_e32 v11, v29, v28
	v_sub_f32_e32 v13, v22, v29
	v_sub_f32_e32 v5, v1, v5
	v_sub_f32_e32 v3, v3, v1
	v_add_f32_e32 v17, v0, v1
	v_mov_b32_e32 v20, v26
	v_mov_b32_e32 v21, v27
	v_mul_f32_e32 v0, 0x3f4a47b2, v7
	v_mul_f32_e32 v1, 0x3f4a47b2, v12
	;; [unrolled: 1-line block ×4, first 2 shown]
	v_fmac_f32_e32 v20, 0xbf955555, v33
	v_fmac_f32_e32 v21, 0xbf955555, v32
	v_fma_f32 v15, v6, s17, -v0
	v_fmac_f32_e32 v0, 0x3d64c772, v8
	v_fma_f32 v16, v11, s17, -v1
	;; [unrolled: 2-line block ×4, first 2 shown]
	v_fmac_f32_e32 v12, 0x3eae86e6, v5
	v_lshlrev_b32_e32 v28, 3, v70
	v_add_f32_e32 v24, v0, v20
	v_add_f32_e32 v25, v1, v21
	v_fmac_f32_e32 v7, 0x3ee1c552, v14
	v_fmac_f32_e32 v12, 0x3ee1c552, v17
	v_add_f32_e32 v0, v12, v24
	v_sub_f32_e32 v1, v25, v7
	v_add_u32_e32 v29, 0x2800, v28
	ds_write2_b64 v29, v[26:27], v[0:1] offset0:92 offset1:141
	v_mul_f32_e32 v0, 0x3d64c772, v8
	v_fma_f32 v0, v6, s2, -v0
	v_mul_f32_e32 v6, 0xbf5ff5aa, v2
	v_mul_f32_e32 v1, 0x3d64c772, v13
	v_fmac_f32_e32 v6, 0xbeae86e6, v4
	v_mul_f32_e32 v4, 0xbf5ff5aa, v3
	v_fma_f32 v1, v11, s2, -v1
	v_fmac_f32_e32 v4, 0xbeae86e6, v5
	v_add_f32_e32 v5, v0, v20
	v_add_f32_e32 v8, v15, v20
	;; [unrolled: 1-line block ×4, first 2 shown]
	v_fmac_f32_e32 v22, 0x3ee1c552, v14
	v_fmac_f32_e32 v6, 0x3ee1c552, v14
	;; [unrolled: 1-line block ×4, first 2 shown]
	v_add_f32_e32 v0, v4, v8
	v_sub_f32_e32 v1, v13, v6
	v_sub_f32_e32 v2, v5, v23
	v_add_f32_e32 v3, v22, v11
	ds_write2_b64 v29, v[0:1], v[2:3] offset0:190 offset1:239
	v_add_f32_e32 v0, v23, v5
	v_sub_f32_e32 v1, v11, v22
	v_sub_f32_e32 v2, v8, v4
	v_add_f32_e32 v3, v6, v13
	v_add_u32_e32 v4, 0x3000, v28
	ds_write2_b64 v4, v[0:1], v[2:3] offset0:32 offset1:81
	v_accvgpr_write_b32 a19, v4
	v_sub_f32_e32 v2, v132, v88
	v_sub_f32_e32 v4, v218, v200
	;; [unrolled: 1-line block ×5, first 2 shown]
	v_add_f32_e32 v16, v4, v2
	v_sub_f32_e32 v1, v139, v137
	v_sub_f32_e32 v17, v4, v2
	;; [unrolled: 1-line block ×4, first 2 shown]
	v_add_f32_e32 v16, v16, v0
	v_add_f32_e32 v0, v5, v3
	v_sub_f32_e32 v8, v231, v235
	v_sub_f32_e32 v14, v236, v238
	;; [unrolled: 1-line block ×3, first 2 shown]
	v_add_f32_e32 v21, v0, v1
	v_accvgpr_read_b32 v0, a10
	v_sub_f32_e32 v6, v232, v231
	v_sub_f32_e32 v11, v235, v232
	;; [unrolled: 1-line block ×6, first 2 shown]
	v_mov_b32_e32 v22, v18
	v_mov_b32_e32 v23, v19
	v_lshlrev_b32_e32 v30, 3, v0
	v_mul_f32_e32 v0, 0x3f4a47b2, v8
	v_mul_f32_e32 v1, 0x3f4a47b2, v14
	;; [unrolled: 1-line block ×4, first 2 shown]
	v_fmac_f32_e32 v22, 0xbf955555, v226
	v_fmac_f32_e32 v23, 0xbf955555, v227
	v_fma_f32 v17, v6, s17, -v0
	v_fmac_f32_e32 v0, 0x3d64c772, v11
	v_fma_f32 v20, v13, s17, -v1
	;; [unrolled: 2-line block ×4, first 2 shown]
	v_fmac_f32_e32 v14, 0x3eae86e6, v5
	v_accvgpr_write_b32 a20, v29
	v_mov_b32_e32 v33, v28
	v_add_f32_e32 v28, v0, v22
	v_add_f32_e32 v29, v1, v23
	v_fmac_f32_e32 v8, 0x3ee1c552, v16
	v_fmac_f32_e32 v14, 0x3ee1c552, v21
	v_add_f32_e32 v0, v14, v28
	v_sub_f32_e32 v1, v29, v8
	v_add_u32_e32 v32, 0x3000, v30
	ds_write2_b64 v32, v[18:19], v[0:1] offset0:179 offset1:228
	v_mul_f32_e32 v0, 0x3d64c772, v11
	v_fma_f32 v0, v6, s2, -v0
	v_mul_f32_e32 v6, 0xbf5ff5aa, v2
	v_mul_f32_e32 v1, 0x3d64c772, v15
	v_fmac_f32_e32 v6, 0xbeae86e6, v4
	v_mul_f32_e32 v4, 0xbf5ff5aa, v3
	v_fma_f32 v1, v13, s2, -v1
	v_fmac_f32_e32 v4, 0xbeae86e6, v5
	v_add_f32_e32 v5, v0, v22
	v_add_f32_e32 v11, v17, v22
	v_add_f32_e32 v13, v1, v23
	v_add_f32_e32 v15, v20, v23
	v_fmac_f32_e32 v26, 0x3ee1c552, v16
	v_fmac_f32_e32 v6, 0x3ee1c552, v16
	;; [unrolled: 1-line block ×4, first 2 shown]
	v_add_f32_e32 v0, v4, v11
	v_sub_f32_e32 v1, v15, v6
	v_sub_f32_e32 v2, v5, v27
	v_add_f32_e32 v3, v26, v13
	v_add_u32_e32 v16, 0x3800, v30
	ds_write2_b64 v16, v[0:1], v[2:3] offset0:21 offset1:70
	v_add_f32_e32 v0, v27, v5
	v_sub_f32_e32 v1, v13, v26
	v_sub_f32_e32 v2, v11, v4
	v_add_f32_e32 v3, v6, v15
	ds_write2_b64 v16, v[0:1], v[2:3] offset0:119 offset1:168
	v_sub_f32_e32 v2, v184, v204
	v_sub_f32_e32 v4, v94, v154
	;; [unrolled: 1-line block ×5, first 2 shown]
	v_add_f32_e32 v18, v4, v2
	v_sub_f32_e32 v1, v46, v91
	v_sub_f32_e32 v19, v4, v2
	;; [unrolled: 1-line block ×4, first 2 shown]
	v_add_f32_e32 v18, v18, v0
	v_add_f32_e32 v0, v5, v3
	v_accvgpr_write_b32 a245, v16
	v_sub_f32_e32 v11, v202, v45
	v_sub_f32_e32 v16, v40, v211
	;; [unrolled: 1-line block ×3, first 2 shown]
	v_add_f32_e32 v21, v0, v1
	v_accvgpr_read_b32 v0, a7
	v_sub_f32_e32 v6, v203, v202
	v_sub_f32_e32 v13, v45, v203
	;; [unrolled: 1-line block ×6, first 2 shown]
	v_mov_b32_e32 v22, v38
	v_mov_b32_e32 v23, v39
	v_lshlrev_b32_e32 v34, 3, v0
	v_mul_f32_e32 v0, 0x3f4a47b2, v11
	v_mul_f32_e32 v1, 0x3f4a47b2, v16
	;; [unrolled: 1-line block ×4, first 2 shown]
	v_fmac_f32_e32 v22, 0xbf955555, v80
	v_fmac_f32_e32 v23, 0xbf955555, v47
	v_fma_f32 v19, v6, s17, -v0
	v_fmac_f32_e32 v0, 0x3d64c772, v13
	v_fma_f32 v20, v15, s17, -v1
	;; [unrolled: 2-line block ×4, first 2 shown]
	v_fmac_f32_e32 v16, 0x3eae86e6, v5
	v_accvgpr_write_b32 a16, v43
	v_accvgpr_write_b32 a18, v32
	v_mov_b32_e32 v43, v30
	v_add_f32_e32 v30, v0, v22
	v_add_f32_e32 v32, v1, v23
	v_fmac_f32_e32 v11, 0x3ee1c552, v18
	v_fmac_f32_e32 v16, 0x3ee1c552, v21
	v_add_f32_e32 v0, v16, v30
	v_sub_f32_e32 v1, v32, v11
	v_add_u32_e32 v40, 0x4000, v34
	ds_write2_b64 v40, v[38:39], v[0:1] offset0:10 offset1:59
	v_mul_f32_e32 v0, 0x3d64c772, v13
	v_fma_f32 v0, v6, s2, -v0
	v_mul_f32_e32 v6, 0xbf5ff5aa, v2
	v_mul_f32_e32 v1, 0x3d64c772, v17
	v_fmac_f32_e32 v6, 0xbeae86e6, v4
	v_mul_f32_e32 v4, 0xbf5ff5aa, v3
	v_fma_f32 v1, v15, s2, -v1
	v_fmac_f32_e32 v4, 0xbeae86e6, v5
	v_add_f32_e32 v5, v0, v22
	v_add_f32_e32 v13, v19, v22
	;; [unrolled: 1-line block ×4, first 2 shown]
	v_fmac_f32_e32 v26, 0x3ee1c552, v18
	v_fmac_f32_e32 v6, 0x3ee1c552, v18
	v_fmac_f32_e32 v27, 0x3ee1c552, v21
	v_fmac_f32_e32 v4, 0x3ee1c552, v21
	v_add_f32_e32 v0, v4, v13
	v_sub_f32_e32 v1, v17, v6
	v_sub_f32_e32 v2, v5, v27
	v_add_f32_e32 v3, v26, v15
	ds_write2_b64 v40, v[0:1], v[2:3] offset0:108 offset1:157
	v_add_f32_e32 v0, v27, v5
	v_sub_f32_e32 v1, v15, v26
	v_sub_f32_e32 v2, v13, v4
	v_add_f32_e32 v3, v6, v17
	ds_write2_b64 v40, v[0:1], v[2:3] offset0:206 offset1:255
	v_sub_f32_e32 v0, v30, v16
	v_add_f32_e32 v1, v11, v32
	v_sub_f32_e32 v2, v28, v14
	v_add_f32_e32 v3, v8, v29
	;; [unrolled: 2-line block ×5, first 2 shown]
	ds_write_b64 v42, v[12:13] offset:7840
	ds_write_b64 v36, v[6:7] offset:10584
	;; [unrolled: 1-line block ×5, first 2 shown]
	v_accvgpr_read_b32 v0, a8
	s_waitcnt lgkmcnt(0)
	; wave barrier
	s_waitcnt lgkmcnt(0)
	global_load_dwordx4 v[6:9], v[168:169], off offset:2720
	v_mad_u64_u32 v[18:19], s[6:7], v0, 48, s[10:11]
	global_load_dwordx4 v[136:139], v[18:19], off offset:2688
	ds_read2_b64 v[0:3], v185 offset0:10 offset1:59
	global_load_dwordx4 v[212:215], v[18:19], off offset:2720
	global_load_dwordx4 v[78:81], v[18:19], off offset:2704
	s_mov_b64 s[6:7], 0x13b0
	v_accvgpr_write_b32 a241, v34
	v_accvgpr_write_b32 a240, v40
	;; [unrolled: 1-line block ×5, first 2 shown]
	v_mov_b32_e32 v55, v57
	v_mov_b32_e32 v228, v66
	;; [unrolled: 1-line block ×3, first 2 shown]
	v_accvgpr_read_b32 v44, a6
	v_accvgpr_write_b32 a7, v151
	v_accvgpr_read_b32 v187, a1
	v_accvgpr_read_b32 v45, a0
	s_mov_b32 s10, 0x3ee1c552
	v_accvgpr_write_b32 a243, v33
	v_accvgpr_read_b32 v184, a4
	s_waitcnt vmcnt(3) lgkmcnt(0)
	v_mul_f32_e32 v4, v1, v9
	v_fma_f32 v29, v0, v8, -v4
	v_mul_f32_e32 v28, v0, v9
	v_fmac_f32_e32 v28, v1, v8
	s_waitcnt vmcnt(1)
	v_mul_f32_e32 v0, v3, v215
	v_mul_f32_e32 v140, v2, v215
	v_fma_f32 v141, v2, v214, -v0
	v_fmac_f32_e32 v140, v3, v214
	ds_read2_b64 v[0:3], v66 offset0:136 offset1:185
	v_mov_b64_e32 v[218:219], v[8:9]
	v_mov_b64_e32 v[216:217], v[6:7]
	v_accvgpr_write_b32 a205, v139
	v_accvgpr_write_b32 a204, v138
	s_waitcnt lgkmcnt(0)
	v_mul_f32_e32 v4, v1, v137
	v_fma_f32 v145, v0, v136, -v4
	v_mul_f32_e32 v144, v0, v137
	v_add_co_u32_e32 v0, vcc, s16, v18
	v_fmac_f32_e32 v144, v1, v136
	s_nop 0
	v_addc_co_u32_e32 v1, vcc, 0, v19, vcc
	global_load_dwordx4 v[202:205], v[0:1], off offset:944
	global_load_dwordx4 v[8:11], v[0:1], off offset:3296
	v_accvgpr_write_b32 a203, v137
	v_accvgpr_write_b32 a202, v136
	;; [unrolled: 1-line block ×6, first 2 shown]
	v_add_f32_e32 v231, v144, v140
	s_mov_b32 s16, 0x3f955555
	s_waitcnt vmcnt(1)
	v_mul_f32_e32 v0, v3, v203
	v_fma_f32 v147, v2, v202, -v0
	v_lshl_add_u64 v[0:1], v[18:19], 0, s[6:7]
	global_load_dwordx4 v[46:49], v[0:1], off offset:32
	global_load_dwordx4 v[88:91], v[0:1], off offset:16
	v_mul_f32_e32 v146, v2, v203
	v_fmac_f32_e32 v146, v3, v202
	ds_read2_b64 v[0:3], v185 offset0:108 offset1:157
	s_mov_b64 s[6:7], 0x2610
	s_waitcnt vmcnt(2)
	v_accvgpr_write_b32 a171, v11
	v_accvgpr_write_b32 a170, v10
	;; [unrolled: 1-line block ×8, first 2 shown]
	s_waitcnt vmcnt(1) lgkmcnt(0)
	v_mul_f32_e32 v4, v1, v49
	v_mul_f32_e32 v148, v0, v49
	v_fma_f32 v149, v0, v48, -v4
	v_fmac_f32_e32 v148, v1, v48
	v_lshl_add_u64 v[0:1], v[18:19], 0, s[8:9]
	global_load_dwordx4 v[60:63], v[0:1], off offset:32
	global_load_dwordx4 v[50:53], v[0:1], off offset:16
	s_mov_b64 s[8:9], 0x2f40
	v_accvgpr_write_b32 a8, v46
	v_accvgpr_write_b32 a9, v47
	;; [unrolled: 1-line block ×4, first 2 shown]
	s_waitcnt vmcnt(1)
	v_mul_f32_e32 v0, v3, v63
	v_mul_f32_e32 v34, v2, v63
	v_fma_f32 v35, v2, v62, -v0
	v_fmac_f32_e32 v34, v3, v62
	ds_read2_b64 v[0:3], v57 offset0:106 offset1:155
	v_accvgpr_write_b32 a217, v63
	v_accvgpr_write_b32 a216, v62
	;; [unrolled: 1-line block ×4, first 2 shown]
	s_waitcnt lgkmcnt(0)
	v_mul_f32_e32 v4, v1, v9
	v_fma_f32 v95, v0, v8, -v4
	v_mul_f32_e32 v94, v0, v9
	v_add_co_u32_e32 v0, vcc, s15, v18
	v_fmac_f32_e32 v94, v1, v8
	s_nop 0
	v_addc_co_u32_e32 v1, vcc, 0, v19, vcc
	global_load_dwordx4 v[40:43], v[0:1], off offset:1552
	global_load_dwordx4 v[36:39], v[0:1], off offset:3904
	s_waitcnt vmcnt(1)
	v_mul_f32_e32 v0, v3, v41
	v_fma_f32 v117, v2, v40, -v0
	v_lshl_add_u64 v[0:1], v[18:19], 0, s[6:7]
	global_load_dwordx4 v[56:59], v[0:1], off offset:32
	global_load_dwordx4 v[132:135], v[0:1], off offset:16
	v_mul_f32_e32 v116, v2, v41
	v_fmac_f32_e32 v116, v3, v40
	ds_read2_b64 v[0:3], v185 offset0:206 offset1:255
	s_mov_b64 s[6:7], 0x3870
	s_waitcnt vmcnt(2)
	v_accvgpr_write_b32 a167, v39
	v_accvgpr_write_b32 a166, v38
	;; [unrolled: 1-line block ×8, first 2 shown]
	s_waitcnt vmcnt(1) lgkmcnt(0)
	v_mul_f32_e32 v4, v1, v59
	v_mul_f32_e32 v126, v0, v59
	v_fma_f32 v127, v0, v58, -v4
	v_fmac_f32_e32 v126, v1, v58
	v_lshl_add_u64 v[0:1], v[18:19], 0, s[8:9]
	global_load_dwordx4 v[68:71], v[0:1], off offset:32
	global_load_dwordx4 v[64:67], v[0:1], off offset:16
	ds_read2_b64 v[20:23], v151 offset0:76 offset1:125
	global_load_dwordx4 v[220:223], v[168:169], off offset:2688
	global_load_dwordx4 v[232:235], v[168:169], off offset:2704
	ds_read2_b64 v[236:239], v45 offset0:130 offset1:179
	ds_read2_b64 v[240:243], v228 offset0:38 offset1:87
	s_waitcnt lgkmcnt(2)
	v_mul_f32_e32 v26, v20, v37
	v_fmac_f32_e32 v26, v21, v36
	s_mov_b32 s8, 0x3d64c772
	s_waitcnt lgkmcnt(1)
	v_mul_f32_e32 v202, v239, v217
	v_mul_f32_e32 v208, v238, v217
	v_fmac_f32_e32 v208, v239, v216
	s_mov_b32 s9, 0x3f4a47b2
	s_mov_b32 s15, s8
	s_waitcnt vmcnt(3)
	v_mul_f32_e32 v0, v3, v71
	v_fma_f32 v31, v2, v70, -v0
	v_mul_f32_e32 v0, v21, v37
	v_fma_f32 v27, v20, v36, -v0
	v_add_co_u32_e32 v0, vcc, s14, v18
	v_mul_f32_e32 v30, v2, v71
	s_nop 0
	v_addc_co_u32_e32 v1, vcc, 0, v19, vcc
	v_fmac_f32_e32 v30, v3, v70
	global_load_dwordx4 v[2:5], v[0:1], off offset:2160
	v_lshl_add_u64 v[18:19], v[18:19], 0, s[6:7]
	global_load_dwordx4 v[168:171], v[18:19], off offset:16
	v_accvgpr_read_b32 v36, a3
	s_waitcnt vmcnt(3)
	v_accvgpr_write_b32 a0, v220
	v_accvgpr_write_b32 a1, v221
	;; [unrolled: 1-line block ×4, first 2 shown]
	s_mov_b32 s6, 0xbf5ff5aa
	v_mov_b32_e32 v37, v228
	s_movk_i32 s7, 0x6000
	s_mov_b32 s14, s9
	v_accvgpr_write_b32 a227, v67
	v_accvgpr_write_b32 a226, v66
	;; [unrolled: 1-line block ×4, first 2 shown]
	s_waitcnt vmcnt(1)
	v_mul_f32_e32 v0, v23, v3
	v_mul_f32_e32 v14, v22, v3
	v_fma_f32 v15, v22, v2, -v0
	v_fmac_f32_e32 v14, v23, v2
	ds_read2_b64 v[20:23], v151 offset0:174 offset1:223
	v_accvgpr_write_b32 a145, v5
	v_accvgpr_write_b32 a144, v4
	;; [unrolled: 1-line block ×4, first 2 shown]
	s_waitcnt lgkmcnt(0)
	v_mul_f32_e32 v0, v21, v223
	v_mul_f32_e32 v6, v20, v223
	;; [unrolled: 1-line block ×3, first 2 shown]
	v_fma_f32 v12, v20, v222, -v0
	v_mul_f32_e32 v0, v23, v139
	v_fmac_f32_e32 v6, v21, v222
	v_fmac_f32_e32 v154, v23, v138
	v_fma_f32 v200, v22, v138, -v0
	ds_read2_b64 v[20:23], v44 offset0:54 offset1:103
	s_waitcnt lgkmcnt(0)
	v_mul_f32_e32 v0, v21, v79
	v_fma_f32 v201, v20, v78, -v0
	v_mul_f32_e32 v155, v20, v79
	v_mul_f32_e32 v151, v22, v89
	;; [unrolled: 1-line block ×3, first 2 shown]
	v_fmac_f32_e32 v155, v21, v78
	v_fmac_f32_e32 v151, v23, v88
	v_fma_f32 v153, v22, v88, -v0
	ds_read2_b64 v[20:23], v187 offset0:16 offset1:65
	s_waitcnt lgkmcnt(0)
	v_mul_f32_e32 v0, v21, v205
	v_fma_f32 v152, v20, v204, -v0
	v_mul_f32_e32 v150, v20, v205
	v_mul_f32_e32 v138, v22, v11
	;; [unrolled: 1-line block ×3, first 2 shown]
	v_fmac_f32_e32 v150, v21, v204
	v_fmac_f32_e32 v138, v23, v10
	v_fma_f32 v142, v22, v10, -v0
	ds_read2_b64 v[20:23], v44 offset0:152 offset1:201
	v_mul_f32_e32 v204, v238, v216
	v_pk_add_f32 v[10:11], v[146:147], v[148:149] neg_lo:[0,1] neg_hi:[0,1]
	s_waitcnt lgkmcnt(0)
	v_mul_f32_e32 v0, v21, v51
	v_fma_f32 v143, v20, v50, -v0
	v_mul_f32_e32 v139, v20, v51
	v_mul_f32_e32 v125, v22, v133
	;; [unrolled: 1-line block ×3, first 2 shown]
	v_fmac_f32_e32 v139, v21, v50
	v_fmac_f32_e32 v125, v23, v132
	v_fma_f32 v137, v22, v132, -v0
	ds_read2_b64 v[20:23], v187 offset0:114 offset1:163
	v_mov_b64_e32 v[48:49], v[50:51]
	v_mov_b64_e32 v[50:51], v[52:53]
	v_accvgpr_read_b32 v53, a4
	v_accvgpr_write_b32 a213, v51
	s_waitcnt lgkmcnt(0)
	v_mul_f32_e32 v0, v21, v43
	v_fma_f32 v136, v20, v42, -v0
	v_mul_f32_e32 v0, v23, v39
	v_mul_f32_e32 v124, v20, v43
	v_mul_f32_e32 v20, v22, v39
	v_fma_f32 v224, v22, v38, -v0
	v_accvgpr_read_b32 v0, a102
	v_fmac_f32_e32 v20, v23, v38
	ds_read2_b64 v[22:25], v0 offset0:84 offset1:133
	v_accvgpr_read_b32 v38, a5
	v_fmac_f32_e32 v124, v21, v42
	v_accvgpr_read_b32 v39, a206
	v_accvgpr_write_b32 a209, v59
	s_waitcnt lgkmcnt(0)
	v_mul_f32_e32 v0, v25, v233
	v_fma_f32 v13, v24, v232, -v0
	v_mul_f32_e32 v7, v24, v233
	v_mul_f32_e32 v8, v22, v5
	;; [unrolled: 1-line block ×3, first 2 shown]
	v_fmac_f32_e32 v7, v25, v232
	v_fmac_f32_e32 v8, v23, v4
	v_fma_f32 v118, v22, v4, -v0
	ds_read2_b64 v[22:25], v38 offset0:122 offset1:171
	v_mov_b64_e32 v[2:3], v[212:213]
	v_mov_b64_e32 v[4:5], v[214:215]
	v_mul_f32_e32 v214, v242, v221
	v_fmac_f32_e32 v214, v243, v220
	s_waitcnt lgkmcnt(0)
	v_mul_f32_e32 v0, v23, v65
	v_fma_f32 v225, v22, v64, -v0
	s_waitcnt vmcnt(0)
	v_mul_f32_e32 v0, v25, v169
	v_mul_f32_e32 v21, v22, v65
	;; [unrolled: 1-line block ×3, first 2 shown]
	v_fma_f32 v119, v24, v168, -v0
	v_fmac_f32_e32 v21, v23, v64
	v_fmac_f32_e32 v9, v25, v168
	ds_read2_b64 v[22:25], v54 offset0:92 offset1:141
	v_mul_f32_e32 v0, v243, v221
	v_fma_f32 v215, v242, v220, -v0
	v_add_f32_e32 v217, v215, v29
	v_add_f32_e32 v221, v214, v28
	s_waitcnt lgkmcnt(0)
	v_mul_f32_e32 v203, v23, v235
	v_mul_f32_e32 v205, v22, v234
	;; [unrolled: 1-line block ×4, first 2 shown]
	v_pk_add_f32 v[206:207], v[204:205], v[202:203] neg_lo:[0,1] neg_hi:[0,1]
	v_fmac_f32_e32 v209, v23, v234
	v_fmac_f32_e32 v211, v25, v80
	v_mul_f32_e32 v203, v24, v80
	v_mul_f32_e32 v205, v25, v81
	ds_read2_b64 v[22:25], v36 offset0:100 offset1:149
	v_pk_add_f32 v[218:219], v[12:13], v[206:207]
	v_pk_add_f32 v[222:223], v[6:7], v[208:209]
	v_add_f32_e32 v0, v218, v217
	v_add_f32_e32 v1, v222, v221
	s_waitcnt lgkmcnt(0)
	v_mul_f32_e32 v204, v23, v213
	v_mul_f32_e32 v202, v22, v212
	v_pk_add_f32 v[212:213], v[202:203], v[204:205] neg_lo:[0,1] neg_hi:[0,1]
	ds_read2_b64 v[202:205], v186 offset1:49
	v_mul_f32_e32 v210, v22, v3
	v_fmac_f32_e32 v210, v23, v2
	v_add_f32_e32 v23, v145, v141
	v_pk_add_f32 v[140:141], v[144:145], v[140:141] neg_lo:[0,1] neg_hi:[0,1]
	v_mov_b32_e32 v144, v207
	v_mov_b32_e32 v145, v12
	;; [unrolled: 1-line block ×4, first 2 shown]
	v_pk_add_f32 v[12:13], v[144:145], v[12:13] neg_lo:[0,1] neg_hi:[0,1]
	v_mov_b32_e32 v144, v209
	v_mov_b32_e32 v145, v6
	;; [unrolled: 1-line block ×4, first 2 shown]
	v_add_f32_e32 v0, v219, v0
	v_add_f32_e32 v1, v223, v1
	v_accvgpr_write_b32 a15, v5
	v_pk_add_f32 v[6:7], v[144:145], v[6:7] neg_lo:[0,1] neg_hi:[0,1]
	s_waitcnt lgkmcnt(0)
	v_add_f32_e32 v226, v0, v202
	v_add_f32_e32 v227, v1, v203
	v_accvgpr_write_b32 a14, v4
	v_accvgpr_write_b32 a13, v3
	;; [unrolled: 1-line block ×3, first 2 shown]
	v_pk_add_f32 v[28:29], v[214:215], v[28:29] neg_lo:[0,1] neg_hi:[0,1]
	v_add_f32_e32 v215, v147, v149
	v_add_f32_e32 v5, v146, v148
	v_mov_b32_e32 v148, v6
	v_mov_b32_e32 v149, v12
	;; [unrolled: 1-line block ×4, first 2 shown]
	v_pk_add_f32 v[148:149], v[148:149], v[202:203]
	v_mov_b32_e32 v202, v29
	v_mov_b32_e32 v203, v12
	v_pk_add_f32 v[202:203], v[202:203], v[12:13] neg_lo:[0,1] neg_hi:[0,1]
	v_sub_f32_e32 v17, v13, v29
	v_mov_b32_e32 v12, v28
	v_mov_b32_e32 v13, v6
	v_pk_add_f32 v[12:13], v[12:13], v[6:7] neg_lo:[0,1] neg_hi:[0,1]
	v_sub_f32_e32 v22, v7, v28
	v_pk_add_f32 v[6:7], v[148:149], v[28:29]
	v_pk_mul_f32 v[28:29], v[202:203], s[12:13]
	v_pk_mul_f32 v[12:13], v[12:13], s[12:13]
	v_mov_b32_e32 v149, v29
	v_mov_b32_e32 v148, v13
	;; [unrolled: 1-line block ×5, first 2 shown]
	v_pk_add_f32 v[148:149], v[148:149], v[202:203]
	v_pk_add_f32 v[144:145], v[216:217], v[218:219] neg_lo:[0,1] neg_hi:[0,1]
	v_fma_f32 v29, v17, s3, -v29
	v_fma_f32 v17, v17, s6, -v28
	;; [unrolled: 1-line block ×4, first 2 shown]
	v_pk_fma_f32 v[12:13], v[6:7], s[10:11], v[148:149] op_sel_hi:[1,0,1]
	v_pk_mul_f32 v[6:7], v[6:7], s[10:11] op_sel_hi:[1,0]
	v_mov_b32_e32 v40, v226
	v_sub_f32_e32 v4, v218, v217
	v_mov_b32_e32 v220, v223
	v_add_f32_e32 v32, v7, v29
	v_add_f32_e32 v33, v6, v28
	;; [unrolled: 1-line block ×4, first 2 shown]
	v_fmac_f32_e32 v40, 0xbf955555, v0
	v_mov_b32_e32 v0, v227
	v_pk_mul_f32 v[6:7], v[144:145], s[8:9]
	v_pk_add_f32 v[146:147], v[220:221], v[222:223] neg_lo:[0,1] neg_hi:[0,1]
	v_fmac_f32_e32 v0, 0xbf955555, v1
	v_fma_f32 v1, v4, s2, -v6
	v_pk_add_f32 v[228:229], v[200:201], v[212:213]
	v_pk_add_f32 v[238:239], v[154:155], v[210:211]
	v_pk_mul_f32 v[28:29], v[146:147], s[8:9]
	v_add_f32_e32 v1, v1, v40
	v_add_f32_e32 v2, v228, v23
	;; [unrolled: 1-line block ×3, first 2 shown]
	v_sub_f32_e32 v16, v222, v221
	v_sub_f32_e32 v144, v1, v33
	v_add_f32_e32 v146, v33, v1
	v_fma_f32 v1, v4, s17, -v7
	v_add_f32_e32 v4, v6, v7
	v_add_f32_e32 v7, v28, v29
	;; [unrolled: 1-line block ×4, first 2 shown]
	v_fma_f32 v41, v16, s2, -v28
	v_fma_f32 v16, v16, s17, -v29
	v_add_f32_e32 v6, v4, v40
	v_add_f32_e32 v7, v7, v0
	;; [unrolled: 1-line block ×7, first 2 shown]
	v_sub_f32_e32 v202, v6, v12
	v_add_f32_e32 v203, v13, v7
	v_pk_add_f32 v[204:205], v[6:7], v[12:13]
	v_pk_add_f32 v[6:7], v[6:7], v[12:13] neg_lo:[0,1] neg_hi:[0,1]
	v_add_f32_e32 v28, v22, v1
	v_sub_f32_e32 v29, v0, v17
	v_mov_b32_e32 v205, v7
	v_mov_b32_e32 v6, v213
	;; [unrolled: 1-line block ×5, first 2 shown]
	v_add_f32_e32 v145, v32, v41
	v_sub_f32_e32 v147, v41, v32
	v_sub_f32_e32 v148, v1, v22
	v_add_f32_e32 v149, v17, v0
	ds_write_b64 v186, v[204:205] offset:2744
	ds_write_b64 v186, v[28:29] offset:5488
	;; [unrolled: 1-line block ×6, first 2 shown]
	v_pk_add_f32 v[6:7], v[6:7], v[12:13] neg_lo:[0,1] neg_hi:[0,1]
	v_mov_b32_e32 v12, v211
	v_mov_b32_e32 v13, v154
	;; [unrolled: 1-line block ×4, first 2 shown]
	v_pk_add_f32 v[12:13], v[12:13], v[28:29] neg_lo:[0,1] neg_hi:[0,1]
	v_mov_b32_e32 v29, v6
	v_mov_b32_e32 v28, v12
	;; [unrolled: 1-line block ×4, first 2 shown]
	v_pk_add_f32 v[148:149], v[28:29], v[144:145]
	v_mov_b32_e32 v28, v141
	v_mov_b32_e32 v144, v140
	;; [unrolled: 1-line block ×3, first 2 shown]
	v_pk_add_f32 v[28:29], v[28:29], v[6:7] neg_lo:[0,1] neg_hi:[0,1]
	v_pk_add_f32 v[144:145], v[144:145], v[12:13] neg_lo:[0,1] neg_hi:[0,1]
	v_pk_mul_f32 v[154:155], v[28:29], s[12:13]
	v_pk_mul_f32 v[208:209], v[144:145], s[12:13]
	v_mov_b32_e32 v22, v229
	v_mov_b32_e32 v230, v239
	;; [unrolled: 1-line block ×6, first 2 shown]
	v_pk_add_f32 v[212:213], v[22:23], v[228:229] neg_lo:[0,1] neg_hi:[0,1]
	v_pk_add_f32 v[216:217], v[230:231], v[238:239] neg_lo:[0,1] neg_hi:[0,1]
	v_pk_add_f32 v[210:211], v[28:29], v[144:145]
	ds_read_b64 v[28:29], v186 offset:18816
	ds_read2_b64 v[144:147], v186 offset0:98 offset1:147
	ds_read2_b64 v[200:203], v54 offset0:190 offset1:239
	v_mov_b32_e32 v12, v254
	v_mov_b32_e32 v40, v255
	v_pk_mul_f32 v[212:213], v[212:213], s[8:9]
	v_pk_mul_f32 v[216:217], v[216:217], s[8:9]
	v_fmac_f32_e32 v12, 0xbf955555, v2
	v_fmac_f32_e32 v40, 0xbf955555, v3
	v_add_f32_e32 v0, v212, v213
	v_add_f32_e32 v1, v216, v217
	v_pk_add_f32 v[148:149], v[148:149], v[140:141]
	v_add_f32_e32 v218, v0, v12
	v_add_f32_e32 v219, v1, v40
	v_pk_fma_f32 v[210:211], v[148:149], s[10:11], v[210:211] op_sel_hi:[1,0,1]
	ds_read2_b64 v[204:207], v184 offset0:70 offset1:119
	ds_read2_b64 v[246:249], v186 offset0:196 offset1:245
	;; [unrolled: 1-line block ×4, first 2 shown]
	v_sub_f32_e32 v220, v218, v210
	v_add_f32_e32 v221, v211, v219
	v_pk_add_f32 v[222:223], v[218:219], v[210:211]
	v_pk_add_f32 v[210:211], v[218:219], v[210:211] neg_lo:[0,1] neg_hi:[0,1]
	v_mul_f32_e32 v218, v25, v47
	v_mul_f32_e32 v210, v24, v47
	v_fmac_f32_e32 v210, v25, v46
	v_mul_f32_e32 v24, v24, v46
	s_waitcnt lgkmcnt(4)
	v_mul_f32_e32 v25, v200, v90
	v_mul_f32_e32 v219, v201, v91
	v_mov_b32_e32 v223, v211
	v_pk_add_f32 v[24:25], v[24:25], v[218:219] neg_lo:[0,1] neg_hi:[0,1]
	v_mul_f32_e32 v211, v200, v91
	ds_write2_b64 v186, v[226:227], v[254:255] offset1:49
	v_mov_b32_e32 v218, v25
	v_mov_b32_e32 v219, v152
	v_pk_add_f32 v[226:227], v[152:153], v[24:25]
	v_mov_b32_e32 v152, v153
	v_mov_b32_e32 v153, v24
	v_fmac_f32_e32 v211, v201, v90
	v_pk_add_f32 v[24:25], v[218:219], v[152:153] neg_lo:[0,1] neg_hi:[0,1]
	v_mov_b32_e32 v152, v211
	v_mov_b32_e32 v153, v150
	v_pk_add_f32 v[200:201], v[150:151], v[210:211]
	v_mov_b32_e32 v150, v151
	v_mov_b32_e32 v151, v210
	v_pk_add_f32 v[150:151], v[152:153], v[150:151] neg_lo:[0,1] neg_hi:[0,1]
	v_add_f32_e32 v0, v226, v215
	v_mov_b32_e32 v152, v150
	v_mov_b32_e32 v153, v24
	;; [unrolled: 1-line block ×4, first 2 shown]
	v_add_f32_e32 v0, v227, v0
	v_pk_add_f32 v[152:153], v[152:153], v[210:211]
	v_mov_b32_e32 v210, v11
	v_mov_b32_e32 v211, v24
	;; [unrolled: 1-line block ×4, first 2 shown]
	v_add_f32_e32 v144, v0, v144
	v_pk_add_f32 v[210:211], v[210:211], v[24:25] neg_lo:[0,1] neg_hi:[0,1]
	v_pk_add_f32 v[218:219], v[218:219], v[150:151] neg_lo:[0,1] neg_hi:[0,1]
	v_mov_b32_e32 v22, v144
	v_pk_mul_f32 v[210:211], v[210:211], s[12:13]
	v_pk_mul_f32 v[2:3], v[218:219], s[12:13]
	v_fmac_f32_e32 v22, 0xbf955555, v0
	v_add_f32_e32 v0, v200, v5
	v_mov_b32_e32 v254, v3
	v_mov_b32_e32 v255, v211
	;; [unrolled: 1-line block ×4, first 2 shown]
	v_add_f32_e32 v0, v201, v0
	v_mov_b32_e32 v214, v227
	v_mov_b32_e32 v4, v201
	v_pk_add_f32 v[16:17], v[254:255], v[218:219]
	v_add_f32_e32 v145, v0, v145
	v_pk_add_f32 v[218:219], v[214:215], v[226:227] neg_lo:[0,1] neg_hi:[0,1]
	v_pk_add_f32 v[254:255], v[4:5], v[200:201] neg_lo:[0,1] neg_hi:[0,1]
	v_mov_b32_e32 v24, v145
	v_pk_mul_f32 v[218:219], v[218:219], s[8:9]
	v_pk_mul_f32 v[254:255], v[254:255], s[8:9]
	v_fmac_f32_e32 v24, 0xbf955555, v0
	v_add_f32_e32 v0, v218, v219
	v_add_f32_e32 v1, v254, v255
	v_pk_add_f32 v[32:33], v[152:153], v[10:11]
	v_add_f32_e32 v0, v0, v22
	v_add_f32_e32 v1, v1, v24
	v_pk_fma_f32 v[16:17], v[32:33], s[10:11], v[16:17] op_sel_hi:[1,0,1]
	v_sub_f32_e32 v41, v226, v215
	v_sub_f32_e32 v72, v0, v16
	v_add_f32_e32 v73, v17, v1
	v_pk_add_f32 v[82:83], v[0:1], v[16:17]
	v_pk_add_f32 v[0:1], v[0:1], v[16:17] neg_lo:[0,1] neg_hi:[0,1]
	v_sub_f32_e32 v16, v228, v23
	v_mov_b32_e32 v83, v1
	v_sub_f32_e32 v17, v238, v231
	v_fma_f32 v4, v16, s17, -v213
	ds_write2_b64 v37, v[222:223], v[82:83] offset0:136 offset1:185
	v_sub_f32_e32 v23, v7, v141
	v_sub_f32_e32 v42, v200, v5
	;; [unrolled: 1-line block ×3, first 2 shown]
	v_add_f32_e32 v82, v4, v12
	v_fma_f32 v4, v17, s17, -v217
	v_fma_f32 v10, v41, s17, -v219
	v_sub_f32_e32 v13, v13, v140
	v_sub_f32_e32 v25, v25, v11
	v_pk_mul_f32 v[0:1], v[148:149], s[10:11] op_sel_hi:[1,0]
	v_add_f32_e32 v83, v4, v40
	v_fma_f32 v4, v23, s6, -v154
	v_pk_mul_f32 v[6:7], v[32:33], s[10:11] op_sel_hi:[1,0]
	v_add_f32_e32 v32, v10, v22
	v_fma_f32 v10, v42, s17, -v255
	v_add_f32_e32 v140, v1, v4
	v_fma_f32 v4, v13, s6, -v208
	;; [unrolled: 2-line block ×3, first 2 shown]
	v_fma_f32 v2, v43, s6, -v2
	v_add_f32_e32 v141, v0, v4
	v_add_f32_e32 v148, v7, v10
	;; [unrolled: 1-line block ×4, first 2 shown]
	v_sub_f32_e32 v5, v83, v140
	v_add_f32_e32 v10, v149, v32
	v_sub_f32_e32 v11, v33, v148
	ds_write2_b64 v39, v[4:5], v[10:11] offset0:95 offset1:144
	v_fma_f32 v5, v23, s3, -v155
	v_fma_f32 v10, v13, s3, -v209
	v_fma_f32 v2, v16, s2, -v212
	v_fma_f32 v4, v17, s2, -v216
	v_add_f32_e32 v5, v1, v5
	v_add_f32_e32 v10, v0, v10
	v_fma_f32 v0, v41, s2, -v218
	v_fma_f32 v1, v42, s2, -v254
	;; [unrolled: 1-line block ×4, first 2 shown]
	v_add_f32_e32 v7, v7, v11
	v_add_f32_e32 v6, v6, v3
	v_add_f32_e32 v11, v2, v12
	v_add_f32_e32 v4, v4, v40
	v_add_f32_e32 v12, v0, v22
	v_add_f32_e32 v13, v1, v24
	v_sub_f32_e32 v0, v11, v10
	v_add_f32_e32 v1, v5, v4
	v_sub_f32_e32 v2, v12, v6
	v_add_f32_e32 v3, v7, v13
	ds_write2_b64 v44, v[0:1], v[2:3] offset0:54 offset1:103
	v_add_f32_e32 v0, v10, v11
	v_sub_f32_e32 v1, v4, v5
	v_add_f32_e32 v2, v6, v12
	v_sub_f32_e32 v3, v13, v7
	ds_write2_b64 v54, v[0:1], v[2:3] offset0:141 offset1:190
	v_sub_f32_e32 v0, v82, v141
	v_add_f32_e32 v1, v140, v83
	v_sub_f32_e32 v2, v32, v149
	v_add_f32_e32 v3, v148, v33
	ds_write2_b64 v36, v[0:1], v[2:3] offset0:100 offset1:149
	v_mul_f32_e32 v3, v202, v50
	v_mul_f32_e32 v5, v203, v51
	s_waitcnt lgkmcnt(9)
	v_mul_f32_e32 v4, v205, v61
	v_mul_f32_e32 v2, v204, v60
	;; [unrolled: 1-line block ×3, first 2 shown]
	v_pk_add_f32 v[2:3], v[2:3], v[4:5] neg_lo:[0,1] neg_hi:[0,1]
	v_mul_f32_e32 v0, v204, v61
	ds_write2_b64 v185, v[220:221], v[72:73] offset0:59 offset1:108
	v_fmac_f32_e32 v1, v203, v50
	v_fmac_f32_e32 v0, v205, v60
	v_mov_b32_e32 v72, v3
	v_mov_b32_e32 v73, v142
	;; [unrolled: 1-line block ×4, first 2 shown]
	v_pk_add_f32 v[6:7], v[142:143], v[2:3]
	v_pk_add_f32 v[2:3], v[72:73], v[82:83] neg_lo:[0,1] neg_hi:[0,1]
	v_mov_b32_e32 v72, v1
	v_mov_b32_e32 v73, v138
	;; [unrolled: 1-line block ×4, first 2 shown]
	v_add_f32_e32 v5, v95, v35
	v_add_f32_e32 v11, v94, v34
	v_pk_add_f32 v[12:13], v[138:139], v[0:1]
	v_pk_add_f32 v[0:1], v[72:73], v[82:83] neg_lo:[0,1] neg_hi:[0,1]
	v_add_f32_e32 v4, v6, v5
	v_add_f32_e32 v10, v12, v11
	v_pk_add_f32 v[22:23], v[94:95], v[34:35] neg_lo:[0,1] neg_hi:[0,1]
	v_mov_b32_e32 v72, v0
	v_mov_b32_e32 v73, v2
	;; [unrolled: 1-line block ×4, first 2 shown]
	v_add_f32_e32 v4, v7, v4
	v_add_f32_e32 v10, v13, v10
	v_pk_add_f32 v[72:73], v[72:73], v[82:83]
	v_mov_b32_e32 v82, v23
	v_mov_b32_e32 v83, v2
	;; [unrolled: 1-line block ×4, first 2 shown]
	v_add_f32_e32 v16, v4, v146
	v_add_f32_e32 v17, v10, v147
	v_pk_add_f32 v[82:83], v[82:83], v[2:3] neg_lo:[0,1] neg_hi:[0,1]
	v_pk_add_f32 v[94:95], v[94:95], v[0:1] neg_lo:[0,1] neg_hi:[0,1]
	v_add_f32_e32 v25, v117, v127
	v_add_f32_e32 v33, v116, v126
	v_pk_add_f32 v[34:35], v[116:117], v[126:127] neg_lo:[0,1] neg_hi:[0,1]
	v_pk_mul_f32 v[82:83], v[82:83], s[12:13]
	v_pk_mul_f32 v[116:117], v[94:95], s[12:13]
	v_mov_b32_e32 v40, v16
	v_mov_b32_e32 v41, v17
	;; [unrolled: 1-line block ×6, first 2 shown]
	v_fmac_f32_e32 v40, 0xbf955555, v4
	v_fmac_f32_e32 v41, 0xbf955555, v10
	v_mov_b32_e32 v4, v7
	v_mov_b32_e32 v10, v13
	v_pk_add_f32 v[94:95], v[94:95], v[126:127]
	ds_write2_b64 v186, v[144:145], v[16:17] offset0:98 offset1:147
	v_pk_add_f32 v[16:17], v[4:5], v[6:7] neg_lo:[0,1] neg_hi:[0,1]
	v_pk_add_f32 v[126:127], v[10:11], v[12:13] neg_lo:[0,1] neg_hi:[0,1]
	v_pk_mul_f32 v[16:17], v[16:17], s[8:9]
	v_pk_mul_f32 v[126:127], v[126:127], s[8:9]
	v_add_f32_e32 v0, v16, v17
	v_add_f32_e32 v2, v126, v127
	v_pk_add_f32 v[72:73], v[72:73], v[22:23]
	v_add_f32_e32 v138, v0, v40
	v_add_f32_e32 v139, v2, v41
	v_pk_fma_f32 v[94:95], v[72:73], s[10:11], v[94:95] op_sel_hi:[1,0,1]
	v_mul_f32_e32 v144, v206, v56
	v_sub_f32_e32 v140, v138, v94
	v_add_f32_e32 v141, v95, v139
	v_pk_add_f32 v[142:143], v[138:139], v[94:95]
	v_pk_add_f32 v[94:95], v[138:139], v[94:95] neg_lo:[0,1] neg_hi:[0,1]
	v_mul_f32_e32 v138, v207, v57
	s_waitcnt lgkmcnt(9)
	v_mul_f32_e32 v145, v250, v134
	v_mul_f32_e32 v139, v251, v135
	v_mov_b32_e32 v143, v95
	v_mul_f32_e32 v94, v206, v57
	v_pk_add_f32 v[138:139], v[144:145], v[138:139] neg_lo:[0,1] neg_hi:[0,1]
	v_mul_f32_e32 v95, v250, v135
	v_fmac_f32_e32 v94, v207, v56
	v_mov_b32_e32 v144, v139
	v_mov_b32_e32 v145, v136
	v_pk_add_f32 v[146:147], v[136:137], v[138:139]
	v_mov_b32_e32 v136, v137
	v_mov_b32_e32 v137, v138
	v_fmac_f32_e32 v95, v251, v134
	v_pk_add_f32 v[136:137], v[144:145], v[136:137] neg_lo:[0,1] neg_hi:[0,1]
	v_mov_b32_e32 v138, v95
	v_mov_b32_e32 v139, v124
	v_pk_add_f32 v[144:145], v[124:125], v[94:95]
	v_mov_b32_e32 v124, v125
	v_mov_b32_e32 v125, v94
	v_pk_add_f32 v[124:125], v[138:139], v[124:125] neg_lo:[0,1] neg_hi:[0,1]
	v_mov_b32_e32 v95, v136
	v_mov_b32_e32 v94, v124
	v_mov_b32_e32 v138, v125
	v_mov_b32_e32 v139, v137
	v_pk_add_f32 v[138:139], v[94:95], v[138:139]
	v_mov_b32_e32 v94, v35
	v_mov_b32_e32 v148, v34
	;; [unrolled: 1-line block ×3, first 2 shown]
	v_pk_add_f32 v[94:95], v[94:95], v[136:137] neg_lo:[0,1] neg_hi:[0,1]
	v_pk_add_f32 v[148:149], v[148:149], v[124:125] neg_lo:[0,1] neg_hi:[0,1]
	v_pk_mul_f32 v[150:151], v[94:95], s[12:13]
	v_pk_mul_f32 v[148:149], v[148:149], s[12:13]
	v_add_f32_e32 v0, v146, v25
	v_mov_b32_e32 v94, v149
	v_mov_b32_e32 v95, v151
	;; [unrolled: 1-line block ×4, first 2 shown]
	v_add_f32_e32 v0, v147, v0
	v_pk_add_f32 v[152:153], v[94:95], v[152:153]
	v_add_f32_e32 v94, v0, v246
	v_mov_b32_e32 v10, v94
	v_fmac_f32_e32 v10, 0xbf955555, v0
	v_add_f32_e32 v0, v144, v33
	v_add_f32_e32 v0, v145, v0
	v_mov_b32_e32 v32, v145
	v_add_f32_e32 v95, v0, v247
	v_mov_b32_e32 v24, v147
	v_pk_add_f32 v[200:201], v[32:33], v[144:145] neg_lo:[0,1] neg_hi:[0,1]
	v_mov_b32_e32 v13, v95
	v_pk_add_f32 v[154:155], v[24:25], v[146:147] neg_lo:[0,1] neg_hi:[0,1]
	v_pk_mul_f32 v[200:201], v[200:201], s[8:9]
	v_fmac_f32_e32 v13, 0xbf955555, v0
	v_pk_mul_f32 v[154:155], v[154:155], s[8:9]
	v_add_f32_e32 v2, v200, v201
	v_sub_f32_e32 v24, v6, v5
	v_sub_f32_e32 v11, v12, v11
	;; [unrolled: 1-line block ×4, first 2 shown]
	v_add_f32_e32 v203, v2, v13
	v_sub_f32_e32 v25, v144, v33
	v_fma_f32 v2, v24, s17, -v17
	v_fma_f32 v6, v23, s17, -v155
	v_add_f32_e32 v0, v154, v155
	v_pk_add_f32 v[138:139], v[138:139], v[34:35]
	v_sub_f32_e32 v32, v137, v35
	v_add_f32_e32 v17, v2, v40
	v_fma_f32 v2, v11, s17, -v127
	v_add_f32_e32 v43, v6, v10
	v_fma_f32 v6, v25, s17, -v201
	v_add_f32_e32 v202, v0, v10
	v_sub_f32_e32 v22, v1, v22
	v_sub_f32_e32 v33, v125, v34
	v_pk_mul_f32 v[0:1], v[72:73], s[10:11] op_sel_hi:[1,0]
	v_add_f32_e32 v34, v2, v41
	v_fma_f32 v2, v12, s6, -v82
	v_pk_mul_f32 v[4:5], v[138:139], s[10:11] op_sel_hi:[1,0]
	v_add_f32_e32 v72, v6, v13
	v_fma_f32 v6, v32, s6, -v150
	v_add_f32_e32 v35, v1, v2
	v_fma_f32 v2, v22, s6, -v116
	;; [unrolled: 2-line block ×3, first 2 shown]
	v_add_f32_e32 v42, v0, v2
	v_add_f32_e32 v82, v4, v6
	;; [unrolled: 1-line block ×3, first 2 shown]
	v_sub_f32_e32 v3, v34, v35
	v_add_f32_e32 v6, v82, v43
	v_sub_f32_e32 v7, v72, v73
	ds_write2_b64 v187, v[2:3], v[6:7] offset0:65 offset1:114
	v_fma_f32 v6, v12, s3, -v83
	v_fma_f32 v7, v22, s3, -v117
	v_fma_f32 v2, v24, s2, -v16
	v_fma_f32 v3, v11, s2, -v126
	v_add_f32_e32 v6, v1, v6
	v_add_f32_e32 v7, v0, v7
	v_fma_f32 v0, v23, s2, -v154
	v_fma_f32 v1, v25, s2, -v200
	v_fma_f32 v11, v32, s3, -v151
	v_fma_f32 v12, v33, s3, -v149
	v_add_f32_e32 v5, v5, v11
	v_add_f32_e32 v4, v4, v12
	;; [unrolled: 1-line block ×6, first 2 shown]
	v_pk_fma_f32 v[152:153], v[138:139], s[10:11], v[152:153] op_sel_hi:[1,0,1]
	v_sub_f32_e32 v0, v11, v7
	v_add_f32_e32 v1, v6, v12
	v_sub_f32_e32 v2, v10, v4
	v_add_f32_e32 v3, v5, v13
	v_mov_b32_e32 v47, v37
	v_sub_f32_e32 v204, v202, v152
	v_add_f32_e32 v205, v153, v203
	v_pk_add_f32 v[206:207], v[202:203], v[152:153]
	v_pk_add_f32 v[152:153], v[202:203], v[152:153] neg_lo:[0,1] neg_hi:[0,1]
	ds_write2_b64 v44, v[0:1], v[2:3] offset0:152 offset1:201
	v_add_f32_e32 v0, v7, v11
	v_sub_f32_e32 v1, v12, v6
	v_add_f32_e32 v2, v4, v10
	v_sub_f32_e32 v3, v13, v5
	v_accvgpr_read_b32 v37, a220
	v_mov_b32_e32 v207, v153
	ds_write2_b64 v37, v[0:1], v[2:3] offset0:111 offset1:160
	v_sub_f32_e32 v0, v17, v42
	v_add_f32_e32 v1, v35, v34
	v_sub_f32_e32 v2, v43, v82
	v_add_f32_e32 v3, v73, v72
	ds_write2_b64 v55, v[142:143], v[206:207] offset0:106 offset1:155
	ds_write2_b64 v184, v[0:1], v[2:3] offset0:70 offset1:119
	ds_write2_b64 v185, v[140:141], v[204:205] offset0:157 offset1:206
	v_mul_f32_e32 v1, v252, v66
	v_mul_f32_e32 v3, v253, v67
	s_waitcnt lgkmcnt(14)
	v_mul_f32_e32 v2, v243, v69
	v_mul_f32_e32 v0, v242, v68
	;; [unrolled: 1-line block ×3, first 2 shown]
	v_pk_add_f32 v[24:25], v[0:1], v[2:3] neg_lo:[0,1] neg_hi:[0,1]
	v_mul_f32_e32 v254, v242, v69
	v_fmac_f32_e32 v255, v253, v66
	v_fmac_f32_e32 v254, v243, v68
	v_add_f32_e32 v35, v27, v31
	v_pk_add_f32 v[242:243], v[224:225], v[24:25]
	v_add_f32_e32 v247, v26, v30
	v_add_f32_e32 v0, v242, v35
	v_pk_add_f32 v[250:251], v[20:21], v[254:255]
	v_add_f32_e32 v34, v243, v0
	v_add_f32_e32 v0, v250, v247
	;; [unrolled: 1-line block ×4, first 2 shown]
	v_mul_f32_e32 v249, v236, v171
	v_fmac_f32_e32 v249, v237, v170
	v_mul_f32_e32 v3, v236, v170
	v_mul_f32_e32 v5, v237, v171
	global_load_dwordx4 v[236:239], v[18:19], off offset:32
	v_mov_b32_e32 v22, v225
	v_mov_b32_e32 v23, v24
	v_pk_add_f32 v[18:19], v[26:27], v[30:31] neg_lo:[0,1] neg_hi:[0,1]
	v_add_f32_e32 v252, v34, v248
	v_mov_b32_e32 v26, v18
	v_mov_b32_e32 v246, v251
	v_pk_add_f32 v[32:33], v[246:247], v[250:251] neg_lo:[0,1] neg_hi:[0,1]
	ds_write2_b64 v186, v[94:95], v[252:253] offset0:196 offset1:245
	v_pk_mul_f32 v[32:33], v[32:33], s[8:9]
	v_mov_b32_e32 v46, v36
	v_add_f32_e32 v40, v32, v33
	v_accvgpr_read_b32 v36, a5
	v_accvgpr_read_b32 v42, a7
	v_add_u32_e32 v38, 0x4400, v186
	v_accvgpr_read_b32 v225, a6
	v_accvgpr_write_b32 a208, v58
	v_accvgpr_write_b32 a207, v57
	;; [unrolled: 1-line block ×6, first 2 shown]
	v_accvgpr_read_b32 v50, a5
	v_mov_b32_e32 v48, v55
	v_mov_b32_e32 v51, v187
	v_accvgpr_read_b32 v52, a7
	v_mov_b32_e32 v49, v45
	v_mov_b32_e32 v56, v46
	;; [unrolled: 1-line block ×5, first 2 shown]
	v_accvgpr_write_b32 a223, v71
	v_accvgpr_write_b32 a222, v70
	;; [unrolled: 1-line block ×4, first 2 shown]
	s_waitcnt vmcnt(0)
	v_mul_f32_e32 v0, v29, v239
	v_fma_f32 v1, v28, v238, -v0
	v_mul_f32_e32 v0, v28, v239
	v_mul_f32_e32 v4, v245, v237
	;; [unrolled: 1-line block ×3, first 2 shown]
	v_fmac_f32_e32 v0, v29, v238
	v_pk_add_f32 v[2:3], v[2:3], v[4:5] neg_lo:[0,1] neg_hi:[0,1]
	v_add_f32_e32 v5, v15, v1
	v_add_f32_e32 v11, v14, v0
	v_pk_add_f32 v[0:1], v[14:15], v[0:1] neg_lo:[0,1] neg_hi:[0,1]
	v_mov_b32_e32 v14, v25
	v_mov_b32_e32 v15, v224
	v_pk_add_f32 v[14:15], v[14:15], v[22:23] neg_lo:[0,1] neg_hi:[0,1]
	v_mov_b32_e32 v22, v255
	v_mov_b32_e32 v23, v20
	;; [unrolled: 1-line block ×4, first 2 shown]
	v_pk_add_f32 v[20:21], v[22:23], v[20:21] neg_lo:[0,1] neg_hi:[0,1]
	v_mov_b32_e32 v23, v14
	v_mov_b32_e32 v22, v20
	;; [unrolled: 1-line block ×4, first 2 shown]
	v_pk_add_f32 v[22:23], v[22:23], v[24:25]
	v_mov_b32_e32 v24, v19
	v_mov_b32_e32 v25, v14
	v_mov_b32_e32 v27, v20
	v_pk_add_f32 v[24:25], v[24:25], v[14:15] neg_lo:[0,1] neg_hi:[0,1]
	v_pk_add_f32 v[26:27], v[26:27], v[20:21] neg_lo:[0,1] neg_hi:[0,1]
	v_pk_mul_f32 v[24:25], v[24:25], s[12:13]
	v_pk_mul_f32 v[26:27], v[26:27], s[12:13]
	v_mov_b32_e32 v14, v252
	v_mov_b32_e32 v28, v27
	;; [unrolled: 1-line block ×5, first 2 shown]
	v_fmac_f32_e32 v14, 0xbf955555, v34
	v_mov_b32_e32 v34, v243
	v_pk_add_f32 v[28:29], v[28:29], v[30:31]
	v_pk_add_f32 v[30:31], v[34:35], v[242:243] neg_lo:[0,1] neg_hi:[0,1]
	v_mov_b32_e32 v20, v253
	v_pk_mul_f32 v[30:31], v[30:31], s[8:9]
	v_fmac_f32_e32 v20, 0xbf955555, v116
	v_add_f32_e32 v34, v30, v31
	v_pk_add_f32 v[22:23], v[22:23], v[18:19]
	v_add_f32_e32 v72, v34, v14
	v_add_f32_e32 v73, v40, v20
	v_pk_fma_f32 v[28:29], v[22:23], s[10:11], v[28:29] op_sel_hi:[1,0,1]
	v_mul_f32_e32 v248, v244, v237
	v_sub_f32_e32 v82, v72, v28
	v_add_f32_e32 v83, v29, v73
	v_pk_add_f32 v[94:95], v[72:73], v[28:29]
	v_pk_add_f32 v[28:29], v[72:73], v[28:29] neg_lo:[0,1] neg_hi:[0,1]
	v_fmac_f32_e32 v248, v245, v236
	v_mov_b32_e32 v95, v29
	v_mov_b32_e32 v28, v3
	;; [unrolled: 1-line block ×5, first 2 shown]
	v_pk_add_f32 v[6:7], v[118:119], v[2:3]
	v_pk_add_f32 v[12:13], v[8:9], v[248:249]
	v_pk_add_f32 v[2:3], v[28:29], v[72:73] neg_lo:[0,1] neg_hi:[0,1]
	v_mov_b32_e32 v28, v249
	v_mov_b32_e32 v29, v8
	;; [unrolled: 1-line block ×4, first 2 shown]
	v_pk_add_f32 v[8:9], v[28:29], v[8:9] neg_lo:[0,1] neg_hi:[0,1]
	v_add_f32_e32 v4, v6, v5
	v_mov_b32_e32 v28, v8
	v_mov_b32_e32 v29, v2
	;; [unrolled: 1-line block ×4, first 2 shown]
	v_add_f32_e32 v4, v7, v4
	v_pk_add_f32 v[28:29], v[28:29], v[72:73]
	v_mov_b32_e32 v72, v1
	v_mov_b32_e32 v73, v2
	;; [unrolled: 1-line block ×4, first 2 shown]
	v_add_f32_e32 v10, v12, v11
	v_add_f32_e32 v16, v4, v240
	v_pk_add_f32 v[72:73], v[72:73], v[2:3] neg_lo:[0,1] neg_hi:[0,1]
	v_pk_add_f32 v[116:117], v[116:117], v[8:9] neg_lo:[0,1] neg_hi:[0,1]
	v_add_f32_e32 v10, v13, v10
	v_pk_mul_f32 v[72:73], v[72:73], s[12:13]
	v_pk_mul_f32 v[116:117], v[116:117], s[12:13]
	v_mov_b32_e32 v8, v16
	v_add_f32_e32 v17, v10, v241
	v_mov_b32_e32 v118, v117
	v_mov_b32_e32 v119, v73
	;; [unrolled: 1-line block ×4, first 2 shown]
	v_fmac_f32_e32 v8, 0xbf955555, v4
	v_mov_b32_e32 v4, v7
	v_pk_add_f32 v[118:119], v[118:119], v[124:125]
	v_mov_b32_e32 v34, v17
	v_pk_add_f32 v[124:125], v[4:5], v[6:7] neg_lo:[0,1] neg_hi:[0,1]
	v_fmac_f32_e32 v34, 0xbf955555, v10
	v_mov_b32_e32 v10, v13
	v_pk_mul_f32 v[124:125], v[124:125], s[8:9]
	v_pk_add_f32 v[126:127], v[10:11], v[12:13] neg_lo:[0,1] neg_hi:[0,1]
	v_add_f32_e32 v2, v124, v125
	v_sub_f32_e32 v10, v242, v35
	v_add_f32_e32 v136, v2, v8
	v_sub_f32_e32 v13, v250, v247
	v_fma_f32 v2, v10, s17, -v31
	v_sub_f32_e32 v15, v15, v19
	v_sub_f32_e32 v18, v21, v18
	;; [unrolled: 1-line block ×3, first 2 shown]
	v_add_f32_e32 v21, v2, v14
	v_fma_f32 v2, v13, s17, -v33
	v_pk_mul_f32 v[126:127], v[126:127], s[8:9]
	v_pk_add_f32 v[28:29], v[28:29], v[0:1]
	v_sub_f32_e32 v11, v12, v11
	v_sub_f32_e32 v12, v3, v1
	;; [unrolled: 1-line block ×3, first 2 shown]
	v_pk_mul_f32 v[0:1], v[22:23], s[10:11] op_sel_hi:[1,0]
	v_add_f32_e32 v22, v2, v20
	v_fma_f32 v2, v15, s6, -v24
	v_fma_f32 v6, v19, s17, -v125
	v_add_f32_e32 v4, v126, v127
	v_add_f32_e32 v23, v1, v2
	v_fma_f32 v2, v18, s6, -v26
	v_add_f32_e32 v26, v6, v8
	v_fma_f32 v6, v11, s17, -v127
	v_add_f32_e32 v137, v4, v34
	v_pk_fma_f32 v[118:119], v[28:29], s[10:11], v[118:119] op_sel_hi:[1,0,1]
	v_pk_mul_f32 v[4:5], v[28:29], s[10:11] op_sel_hi:[1,0]
	v_add_f32_e32 v28, v6, v34
	v_fma_f32 v6, v12, s6, -v72
	v_add_f32_e32 v29, v5, v6
	v_fma_f32 v6, v9, s6, -v116
	v_add_f32_e32 v24, v0, v2
	v_add_f32_e32 v31, v4, v6
	;; [unrolled: 1-line block ×3, first 2 shown]
	v_sub_f32_e32 v3, v22, v23
	v_add_f32_e32 v6, v31, v26
	v_sub_f32_e32 v7, v28, v29
	ds_write2_b64 v187, v[2:3], v[6:7] offset0:163 offset1:212
	v_fma_f32 v6, v15, s3, -v25
	v_fma_f32 v7, v18, s3, -v27
	;; [unrolled: 1-line block ×4, first 2 shown]
	v_add_f32_e32 v6, v1, v6
	v_add_f32_e32 v7, v0, v7
	v_fma_f32 v0, v19, s2, -v124
	v_fma_f32 v1, v11, s2, -v126
	;; [unrolled: 1-line block ×4, first 2 shown]
	v_add_f32_e32 v5, v5, v10
	v_add_f32_e32 v4, v4, v9
	;; [unrolled: 1-line block ×6, first 2 shown]
	v_sub_f32_e32 v0, v9, v7
	v_add_f32_e32 v1, v6, v10
	v_sub_f32_e32 v2, v8, v4
	v_add_f32_e32 v3, v5, v11
	ds_write2_b64 v36, v[0:1], v[2:3] offset0:122 offset1:171
	v_add_f32_e32 v0, v7, v9
	v_sub_f32_e32 v1, v10, v6
	v_add_f32_e32 v2, v4, v8
	v_sub_f32_e32 v3, v11, v5
	ds_write2_b64 v45, v[0:1], v[2:3] offset0:81 offset1:130
	v_sub_f32_e32 v0, v21, v24
	v_add_f32_e32 v1, v23, v22
	v_sub_f32_e32 v2, v26, v31
	v_add_f32_e32 v3, v29, v28
	v_sub_f32_e32 v138, v136, v118
	v_add_f32_e32 v139, v119, v137
	v_pk_add_f32 v[140:141], v[136:137], v[118:119]
	v_pk_add_f32 v[118:119], v[136:137], v[118:119] neg_lo:[0,1] neg_hi:[0,1]
	ds_write2_b64 v184, v[0:1], v[2:3] offset0:168 offset1:217
	v_accvgpr_read_b32 v0, a188
	v_mov_b32_e32 v141, v119
	v_accvgpr_read_b32 v1, a189
	ds_write2_b64 v42, v[94:95], v[140:141] offset0:76 offset1:125
	ds_write2_b64 v38, v[82:83], v[138:139] offset0:127 offset1:176
	ds_write_b64 v186, v[16:17] offset:2352
	s_waitcnt lgkmcnt(0)
	; wave barrier
	s_waitcnt lgkmcnt(0)
	global_load_dwordx2 v[4:5], v[0:1], off offset:2824
	s_mov_b64 s[10:11], 0x4b08
	v_lshl_add_u64 v[18:19], v[92:93], 0, s[10:11]
	global_load_dwordx2 v[6:7], v[18:19], off offset:392
	global_load_dwordx2 v[126:127], v[18:19], off offset:784
	;; [unrolled: 1-line block ×3, first 2 shown]
	ds_read2_b64 v[0:3], v186 offset1:49
	v_add_co_u32_e32 v20, vcc, s7, v92
	s_movk_i32 s7, 0x7000
	s_nop 0
	v_addc_co_u32_e32 v21, vcc, 0, v93, vcc
	v_add_co_u32_e32 v144, vcc, s7, v92
	s_mov_b32 s7, 0x8000
	s_nop 0
	v_addc_co_u32_e32 v145, vcc, 0, v93, vcc
	v_add_co_u32_e32 v154, vcc, s7, v92
	s_movk_i32 s7, 0x5000
	s_nop 0
	v_addc_co_u32_e32 v155, vcc, 0, v93, vcc
	v_accvgpr_write_b32 a188, v37
	v_accvgpr_write_b32 a189, v39
	s_mov_b32 s12, 0xbeae86e6
	s_mov_b32 s13, 0x3f08b237
	;; [unrolled: 1-line block ×5, first 2 shown]
	s_waitcnt vmcnt(3) lgkmcnt(0)
	v_mul_f32_e32 v8, v1, v5
	v_mul_f32_e32 v9, v0, v5
	v_fma_f32 v8, v0, v4, -v8
	v_fmac_f32_e32 v9, v1, v4
	ds_write_b64 v186, v[8:9]
	global_load_dwordx2 v[8:9], v[20:21], off offset:120
	global_load_dwordx2 v[142:143], v[18:19], off offset:3920
	s_waitcnt vmcnt(4)
	v_mul_f32_e32 v0, v3, v7
	v_mul_f32_e32 v1, v2, v7
	v_fma_f32 v0, v2, v6, -v0
	v_fmac_f32_e32 v1, v3, v6
	ds_read2_b64 v[4:7], v42 offset0:174 offset1:223
	s_waitcnt vmcnt(1) lgkmcnt(0)
	v_mul_f32_e32 v2, v5, v9
	v_mul_f32_e32 v3, v4, v9
	v_fma_f32 v2, v4, v8, -v2
	v_fmac_f32_e32 v3, v5, v8
	global_load_dwordx2 v[8:9], v[20:21], off offset:512
	global_load_dwordx2 v[138:139], v[20:21], off offset:904
	;; [unrolled: 1-line block ×4, first 2 shown]
	s_waitcnt vmcnt(3)
	v_mul_f32_e32 v4, v7, v9
	v_mul_f32_e32 v5, v6, v9
	v_fma_f32 v4, v6, v8, -v4
	v_fmac_f32_e32 v5, v7, v8
	global_load_dwordx2 v[6:7], v[144:145], off offset:1512
	global_load_dwordx2 v[8:9], v[144:145], off offset:1904
	;; [unrolled: 1-line block ×4, first 2 shown]
	ds_read2_b64 v[22:25], v54 offset0:92 offset1:141
	s_waitcnt vmcnt(3) lgkmcnt(0)
	v_mul_f32_e32 v10, v23, v7
	v_mul_f32_e32 v27, v22, v7
	v_fma_f32 v26, v22, v6, -v10
	v_fmac_f32_e32 v27, v23, v6
	s_waitcnt vmcnt(2)
	v_mul_f32_e32 v6, v25, v9
	v_fma_f32 v28, v24, v8, -v6
	global_load_dwordx2 v[6:7], v[154:155], off offset:2904
	global_load_dwordx2 v[34:35], v[154:155], off offset:2512
	v_mul_f32_e32 v29, v24, v9
	v_fmac_f32_e32 v29, v25, v8
	ds_read2_b64 v[22:25], v185 offset0:10 offset1:59
	s_waitcnt vmcnt(1) lgkmcnt(0)
	v_mul_f32_e32 v8, v23, v7
	v_mul_f32_e32 v95, v22, v7
	v_fma_f32 v94, v22, v6, -v8
	v_fmac_f32_e32 v95, v23, v6
	v_add_co_u32_e32 v6, vcc, s7, v92
	s_mov_b32 s7, 0x9000
	s_nop 0
	v_addc_co_u32_e32 v7, vcc, 0, v93, vcc
	global_load_dwordx2 v[8:9], v[154:155], off offset:3296
	global_load_dwordx2 v[10:11], v[154:155], off offset:3688
	;; [unrolled: 1-line block ×4, first 2 shown]
	v_add_co_u32_e32 v92, vcc, s7, v92
	s_waitcnt vmcnt(3)
	v_mul_f32_e32 v16, v25, v9
	v_mul_f32_e32 v117, v24, v9
	v_fma_f32 v116, v24, v8, -v16
	v_fmac_f32_e32 v117, v25, v8
	global_load_dwordx2 v[8:9], v[18:19], off offset:3136
	global_load_dwordx2 v[16:17], v[18:19], off offset:3528
	ds_read2_b64 v[22:25], v47 offset0:136 offset1:185
	v_addc_co_u32_e32 v93, vcc, 0, v93, vcc
	s_waitcnt vmcnt(1) lgkmcnt(0)
	v_mul_f32_e32 v30, v23, v9
	v_mul_f32_e32 v243, v22, v9
	v_fma_f32 v242, v22, v8, -v30
	v_fmac_f32_e32 v243, v23, v8
	s_waitcnt vmcnt(0)
	v_mul_f32_e32 v8, v25, v17
	v_fma_f32 v240, v24, v16, -v8
	global_load_dwordx2 v[8:9], v[20:21], off offset:3256
	v_mul_f32_e32 v241, v24, v17
	v_fmac_f32_e32 v241, v25, v16
	ds_read2_b64 v[22:25], v44 offset0:54 offset1:103
	s_waitcnt vmcnt(0) lgkmcnt(0)
	v_mul_f32_e32 v16, v23, v9
	v_mul_f32_e32 v245, v22, v9
	v_fma_f32 v244, v22, v8, -v16
	v_fmac_f32_e32 v245, v23, v8
	global_load_dwordx2 v[8:9], v[20:21], off offset:3648
	global_load_dwordx2 v[16:17], v[20:21], off offset:4040
	;; [unrolled: 1-line block ×4, first 2 shown]
	s_waitcnt vmcnt(3)
	v_mul_f32_e32 v22, v25, v9
	v_mul_f32_e32 v247, v24, v9
	v_fma_f32 v246, v24, v8, -v22
	v_fmac_f32_e32 v247, v25, v8
	global_load_dwordx2 v[8:9], v[154:155], off offset:552
	global_load_dwordx2 v[32:33], v[154:155], off offset:944
	global_load_dwordx2 v[72:73], v[154:155], off offset:1336
	ds_read2_b64 v[22:25], v46 offset0:100 offset1:149
	s_waitcnt vmcnt(2) lgkmcnt(0)
	v_mul_f32_e32 v40, v23, v9
	v_mul_f32_e32 v253, v22, v9
	v_fma_f32 v252, v22, v8, -v40
	v_fmac_f32_e32 v253, v23, v8
	s_waitcnt vmcnt(1)
	v_mul_f32_e32 v8, v25, v33
	v_mul_f32_e32 v251, v24, v33
	v_fma_f32 v250, v24, v32, -v8
	v_fmac_f32_e32 v251, v25, v32
	ds_read2_b64 v[22:25], v186 offset0:98 offset1:147
	s_waitcnt lgkmcnt(0)
	v_mul_f32_e32 v8, v23, v127
	v_fma_f32 v254, v22, v126, -v8
	v_mul_f32_e32 v255, v22, v127
	v_mul_f32_e32 v8, v25, v119
	;; [unrolled: 1-line block ×3, first 2 shown]
	v_fmac_f32_e32 v255, v23, v126
	v_fma_f32 v126, v24, v118, -v8
	v_fmac_f32_e32 v127, v25, v118
	ds_read2_b64 v[22:25], v187 offset0:16 offset1:65
	s_waitcnt lgkmcnt(0)
	v_mul_f32_e32 v8, v23, v139
	v_fma_f32 v124, v22, v138, -v8
	v_mul_f32_e32 v125, v22, v139
	v_mul_f32_e32 v8, v25, v137
	v_mul_f32_e32 v119, v24, v137
	v_fmac_f32_e32 v125, v23, v138
	v_fma_f32 v118, v24, v136, -v8
	v_fmac_f32_e32 v119, v25, v136
	ds_read2_b64 v[22:25], v54 offset0:190 offset1:239
	s_waitcnt lgkmcnt(0)
	v_mul_f32_e32 v8, v23, v147
	v_fma_f32 v136, v22, v146, -v8
	global_load_dwordx2 v[8:9], v[144:145], off offset:2688
	global_load_dwordx2 v[32:33], v[144:145], off offset:3080
	;; [unrolled: 1-line block ×4, first 2 shown]
	v_mul_f32_e32 v137, v22, v147
	v_fmac_f32_e32 v137, v23, v146
	s_waitcnt vmcnt(3)
	v_mul_f32_e32 v22, v25, v9
	v_mul_f32_e32 v139, v24, v9
	v_fma_f32 v138, v24, v8, -v22
	v_fmac_f32_e32 v139, v25, v8
	ds_read2_b64 v[22:25], v185 offset0:108 offset1:157
	s_waitcnt lgkmcnt(0)
	v_mul_f32_e32 v8, v23, v11
	v_fma_f32 v144, v22, v10, -v8
	v_mul_f32_e32 v145, v22, v11
	v_mul_f32_e32 v8, v25, v13
	v_mul_f32_e32 v147, v24, v13
	v_fmac_f32_e32 v145, v23, v10
	v_fma_f32 v146, v24, v12, -v8
	v_fmac_f32_e32 v147, v25, v12
	ds_read2_b64 v[22:25], v55 offset0:106 offset1:155
	s_waitcnt lgkmcnt(0)
	v_mul_f32_e32 v8, v23, v143
	v_fma_f32 v200, v22, v142, -v8
	v_mul_f32_e32 v201, v22, v143
	v_mul_f32_e32 v8, v25, v15
	v_mul_f32_e32 v203, v24, v15
	v_fmac_f32_e32 v201, v23, v142
	;; [unrolled: 10-line block ×3, first 2 shown]
	v_fma_f32 v206, v24, v30, -v8
	v_fmac_f32_e32 v207, v25, v30
	ds_read2_b64 v[22:25], v184 offset0:70 offset1:119
	s_waitcnt lgkmcnt(0)
	v_mul_f32_e32 v8, v23, v73
	v_fma_f32 v214, v22, v72, -v8
	global_load_dwordx2 v[8:9], v[154:155], off offset:1728
	global_load_dwordx2 v[230:231], v[154:155], off offset:2120
	v_mul_f32_e32 v215, v22, v73
	v_fmac_f32_e32 v215, v23, v72
	s_waitcnt vmcnt(1)
	v_mul_f32_e32 v10, v25, v9
	v_mul_f32_e32 v209, v24, v9
	v_fma_f32 v208, v24, v8, -v10
	v_fmac_f32_e32 v209, v25, v8
	global_load_dwordx2 v[8:9], v[18:19], off offset:1568
	global_load_dwordx2 v[10:11], v[18:19], off offset:1960
	global_load_dwordx2 v[12:13], v[18:19], off offset:2352
	ds_read2_b64 v[22:25], v186 offset0:196 offset1:245
	s_waitcnt vmcnt(2) lgkmcnt(0)
	v_mul_f32_e32 v14, v23, v9
	v_mul_f32_e32 v213, v22, v9
	v_fma_f32 v212, v22, v8, -v14
	v_fmac_f32_e32 v213, v23, v8
	s_waitcnt vmcnt(1)
	v_mul_f32_e32 v8, v25, v11
	v_mul_f32_e32 v143, v24, v11
	v_fma_f32 v142, v24, v10, -v8
	v_fmac_f32_e32 v143, v25, v10
	ds_read2_b64 v[22:25], v187 offset0:114 offset1:163
	s_waitcnt lgkmcnt(0)
	v_mul_f32_e32 v8, v23, v141
	v_fma_f32 v216, v22, v140, -v8
	global_load_dwordx2 v[8:9], v[20:21], off offset:2080
	global_load_dwordx2 v[10:11], v[20:21], off offset:2472
	v_mul_f32_e32 v217, v22, v141
	v_fmac_f32_e32 v217, v23, v140
	s_waitcnt vmcnt(1)
	v_mul_f32_e32 v14, v25, v9
	v_mul_f32_e32 v219, v24, v9
	v_fma_f32 v218, v24, v8, -v14
	v_fmac_f32_e32 v219, v25, v8
	ds_read2_b64 v[22:25], v45 offset0:32 offset1:81
	s_waitcnt lgkmcnt(0)
	v_mul_f32_e32 v8, v23, v33
	v_fma_f32 v148, v22, v32, -v8
	v_mul_f32_e32 v8, v25, v83
	v_fma_f32 v228, v24, v82, -v8
	global_load_dwordx2 v[8:9], v[92:93], off offset:376
	global_load_dwordx2 v[14:15], v[92:93], off offset:768
	;; [unrolled: 1-line block ×3, first 2 shown]
	v_mul_f32_e32 v149, v22, v33
	v_mul_f32_e32 v229, v24, v83
	v_fmac_f32_e32 v149, v23, v32
	v_fmac_f32_e32 v229, v25, v82
	ds_read2_b64 v[22:25], v185 offset0:206 offset1:255
	global_load_dwordx2 v[6:7], v[6:7], off offset:3432
	v_mov_b32_e32 v32, v47
	s_waitcnt vmcnt(3) lgkmcnt(0)
	v_mul_f32_e32 v30, v23, v9
	v_mul_f32_e32 v141, v22, v9
	v_fma_f32 v140, v22, v8, -v30
	v_fmac_f32_e32 v141, v23, v8
	s_waitcnt vmcnt(2)
	v_mul_f32_e32 v8, v25, v15
	v_fma_f32 v150, v24, v14, -v8
	global_load_dwordx2 v[8:9], v[18:19], off offset:2744
	v_mul_f32_e32 v151, v24, v15
	v_fmac_f32_e32 v151, v25, v14
	ds_read2_b64 v[22:25], v47 offset0:38 offset1:87
	v_accvgpr_read_b32 v30, a102
	v_mov_b32_e32 v58, v30
	v_accvgpr_write_b32 a102, v38
	s_waitcnt lgkmcnt(0)
	v_mul_f32_e32 v221, v22, v13
	v_fmac_f32_e32 v221, v23, v12
	s_waitcnt vmcnt(0)
	v_mul_f32_e32 v14, v25, v9
	v_mul_f32_e32 v223, v24, v9
	v_fma_f32 v222, v24, v8, -v14
	v_fmac_f32_e32 v223, v25, v8
	v_mul_f32_e32 v8, v23, v13
	v_fma_f32 v220, v22, v12, -v8
	ds_read2_b64 v[22:25], v42 offset0:76 offset1:125
	global_load_dwordx2 v[12:13], v[154:155], off offset:160
	s_waitcnt lgkmcnt(0)
	v_mul_f32_e32 v8, v23, v7
	v_mul_f32_e32 v19, v22, v7
	v_fma_f32 v18, v22, v6, -v8
	v_fmac_f32_e32 v19, v23, v6
	v_mul_f32_e32 v6, v25, v17
	v_fma_f32 v152, v24, v16, -v6
	global_load_dwordx2 v[6:7], v[20:21], off offset:2864
	v_mul_f32_e32 v153, v24, v17
	v_fmac_f32_e32 v153, v25, v16
	ds_read2_b64 v[22:25], v30 offset0:84 offset1:133
	s_waitcnt lgkmcnt(0)
	v_mul_f32_e32 v21, v22, v11
	v_fmac_f32_e32 v21, v23, v10
	s_waitcnt vmcnt(0)
	v_mul_f32_e32 v8, v25, v7
	v_mul_f32_e32 v9, v24, v7
	v_fma_f32 v8, v24, v6, -v8
	v_fmac_f32_e32 v9, v25, v6
	v_mul_f32_e32 v6, v23, v11
	v_fma_f32 v20, v22, v10, -v6
	ds_read2_b64 v[22:25], v36 offset0:122 offset1:171
	s_waitcnt lgkmcnt(0)
	v_mul_f32_e32 v6, v23, v227
	v_mul_f32_e32 v7, v22, v227
	;; [unrolled: 1-line block ×4, first 2 shown]
	v_fma_f32 v6, v22, v226, -v6
	v_fmac_f32_e32 v7, v23, v226
	v_fma_f32 v10, v24, v248, -v10
	v_fmac_f32_e32 v11, v25, v248
	ds_read2_b64 v[22:25], v45 offset0:130 offset1:179
	s_waitcnt lgkmcnt(0)
	v_mul_f32_e32 v14, v25, v13
	v_mul_f32_e32 v15, v24, v13
	v_fma_f32 v14, v24, v12, -v14
	v_fmac_f32_e32 v15, v25, v12
	v_mul_f32_e32 v12, v23, v211
	v_mul_f32_e32 v13, v22, v211
	v_fma_f32 v12, v22, v210, -v12
	v_fmac_f32_e32 v13, v23, v210
	ds_read2_b64 v[22:25], v184 offset0:168 offset1:217
	s_waitcnt lgkmcnt(0)
	v_mul_f32_e32 v16, v23, v231
	v_fma_f32 v16, v22, v230, -v16
	v_mul_f32_e32 v17, v22, v231
	v_mul_f32_e32 v22, v25, v35
	v_fmac_f32_e32 v17, v23, v230
	v_fma_f32 v22, v24, v34, -v22
	v_mul_f32_e32 v23, v24, v35
	v_add_u32_e32 v24, 0x400, v186
	v_fmac_f32_e32 v23, v25, v34
	ds_write2_b64 v24, v[142:143], v[220:221] offset0:117 offset1:166
	v_add_u32_e32 v24, 0x3c00, v186
	ds_write2_b64 v24, v[22:23], v[94:95] offset0:89 offset1:138
	ds_write2_b64 v32, v[222:223], v[242:243] offset0:87 offset1:136
	;; [unrolled: 1-line block ×15, first 2 shown]
	v_mov_b32_e32 v37, v185
	v_accvgpr_read_b32 v185, a7
	ds_write2_b64 v185, v[202:203], v[18:19] offset0:27 offset1:76
	ds_write2_b64 v44, v[206:207], v[6:7] offset0:201 offset1:250
	;; [unrolled: 1-line block ×7, first 2 shown]
	global_load_dwordx2 v[0:1], v[92:93], off offset:1160
	ds_read_b64 v[2:3], v186 offset:18816
	v_mov_b32_e32 v22, v47
	s_waitcnt vmcnt(0) lgkmcnt(0)
	v_mul_f32_e32 v4, v3, v1
	v_mul_f32_e32 v5, v2, v1
	v_fma_f32 v4, v2, v0, -v4
	v_fmac_f32_e32 v5, v3, v0
	ds_write2_b64 v38, v[150:151], v[4:5] offset0:127 offset1:176
	s_waitcnt lgkmcnt(0)
	; wave barrier
	s_waitcnt lgkmcnt(0)
	ds_read2_b64 v[0:3], v185 offset0:174 offset1:223
	ds_read2_b64 v[240:243], v45 offset0:130 offset1:179
	ds_read2_b64 v[4:7], v46 offset0:100 offset1:149
	ds_read2_b64 v[22:25], v22 offset0:38 offset1:87
	ds_read2_b64 v[208:211], v37 offset0:10 offset1:59
	ds_read2_b64 v[212:215], v47 offset0:136 offset1:185
	s_waitcnt lgkmcnt(4)
	v_add_f32_e32 v138, v0, v242
	v_add_f32_e32 v136, v1, v243
	v_sub_f32_e32 v126, v0, v242
	v_sub_f32_e32 v124, v1, v243
	s_waitcnt lgkmcnt(3)
	v_add_f32_e32 v35, v2, v4
	v_add_f32_e32 v34, v3, v5
	v_sub_f32_e32 v36, v2, v4
	v_sub_f32_e32 v44, v3, v5
	ds_read2_b64 v[0:3], v187 offset0:16 offset1:65
	s_waitcnt lgkmcnt(2)
	v_add_f32_e32 v231, v24, v208
	v_add_f32_e32 v245, v25, v209
	ds_read2_b64 v[216:219], v37 offset0:108 offset1:157
	s_waitcnt lgkmcnt(2)
	v_add_f32_e32 v247, v212, v210
	s_waitcnt lgkmcnt(1)
	v_add_f32_e32 v95, v0, v6
	v_add_f32_e32 v94, v1, v7
	v_sub_f32_e32 v93, v0, v6
	v_sub_f32_e32 v92, v1, v7
	ds_read2_b64 v[4:7], v53 offset0:70 offset1:119
	v_add_f32_e32 v249, v213, v211
	s_waitcnt lgkmcnt(1)
	v_add_f32_e32 v251, v214, v216
	v_add_f32_e32 v253, v215, v217
	ds_read2_b64 v[220:223], v48 offset0:106 offset1:155
	s_waitcnt lgkmcnt(1)
	v_add_f32_e32 v119, v2, v4
	v_add_f32_e32 v118, v3, v5
	v_sub_f32_e32 v117, v2, v4
	v_sub_f32_e32 v116, v3, v5
	ds_read2_b64 v[0:3], v187 offset0:114 offset1:163
	ds_read2_b64 v[226:229], v37 offset0:206 offset1:255
	s_waitcnt lgkmcnt(2)
	v_add_f32_e32 v255, v220, v218
	v_add_f32_e32 v201, v221, v219
	v_mov_b32_e32 v187, v37
	s_waitcnt lgkmcnt(1)
	v_add_f32_e32 v139, v0, v6
	v_add_f32_e32 v137, v1, v7
	v_sub_f32_e32 v127, v0, v6
	v_sub_f32_e32 v125, v1, v7
	ds_read2_b64 v[4:7], v53 offset0:168 offset1:217
	s_waitcnt lgkmcnt(1)
	v_add_f32_e32 v37, v222, v226
	v_add_f32_e32 v39, v223, v227
	v_sub_f32_e32 v208, v24, v208
	v_sub_f32_e32 v209, v25, v209
	s_waitcnt lgkmcnt(0)
	v_add_f32_e32 v143, v2, v4
	v_add_f32_e32 v142, v3, v5
	v_sub_f32_e32 v141, v2, v4
	v_sub_f32_e32 v140, v3, v5
	ds_read2_b64 v[0:3], v30 offset0:84 offset1:133
	v_sub_f32_e32 v210, v212, v210
	v_sub_f32_e32 v212, v136, v245
	;; [unrolled: 1-line block ×4, first 2 shown]
	s_waitcnt lgkmcnt(0)
	v_add_f32_e32 v147, v0, v6
	v_add_f32_e32 v146, v1, v7
	v_sub_f32_e32 v145, v0, v6
	v_sub_f32_e32 v144, v1, v7
	ds_read2_b64 v[4:7], v54 offset0:92 offset1:141
	v_sub_f32_e32 v215, v215, v217
	v_sub_f32_e32 v46, v223, v227
	s_waitcnt lgkmcnt(0)
	v_add_f32_e32 v10, v2, v4
	v_add_f32_e32 v11, v3, v5
	v_sub_f32_e32 v14, v4, v2
	v_sub_f32_e32 v15, v5, v3
	ds_read2_b64 v[0:3], v225 offset0:54 offset1:103
	v_sub_f32_e32 v213, v14, v126
	v_sub_f32_e32 v216, v15, v124
	v_mul_f32_e32 v213, 0x3f08b237, v213
	v_mul_f32_e32 v216, 0x3f08b237, v216
	s_waitcnt lgkmcnt(0)
	v_add_f32_e32 v16, v0, v6
	v_add_f32_e32 v17, v1, v7
	v_sub_f32_e32 v30, v6, v0
	v_sub_f32_e32 v31, v7, v1
	ds_read2_b64 v[4:7], v54 offset0:190 offset1:239
	v_accvgpr_read_b32 v54, a6
	s_waitcnt lgkmcnt(0)
	v_add_f32_e32 v32, v2, v4
	v_add_f32_e32 v33, v3, v5
	v_sub_f32_e32 v40, v4, v2
	v_sub_f32_e32 v41, v5, v3
	ds_read2_b64 v[0:3], v225 offset0:152 offset1:201
	v_mov_b32_e32 v225, v47
	v_sub_f32_e32 v47, v220, v218
	v_sub_f32_e32 v218, v221, v219
	s_waitcnt lgkmcnt(0)
	v_add_f32_e32 v42, v0, v6
	v_add_f32_e32 v43, v1, v7
	v_sub_f32_e32 v72, v6, v0
	v_sub_f32_e32 v73, v7, v1
	ds_read2_b64 v[4:7], v45 offset0:32 offset1:81
	v_sub_f32_e32 v45, v222, v226
	s_waitcnt lgkmcnt(0)
	v_add_f32_e32 v82, v2, v4
	v_add_f32_e32 v83, v3, v5
	v_sub_f32_e32 v224, v4, v2
	v_sub_f32_e32 v230, v5, v3
	ds_read2_b64 v[0:3], v50 offset0:122 offset1:171
	s_waitcnt lgkmcnt(0)
	v_add_f32_e32 v155, v0, v6
	v_sub_f32_e32 v153, v6, v0
	v_add_f32_e32 v0, v138, v231
	v_add_f32_e32 v244, v10, v0
	v_add_f32_e32 v0, v136, v245
	v_add_f32_e32 v154, v1, v7
	v_sub_f32_e32 v152, v7, v1
	v_add_f32_e32 v13, v2, v240
	v_add_f32_e32 v12, v3, v241
	v_sub_f32_e32 v28, v240, v2
	v_sub_f32_e32 v29, v241, v3
	v_add_f32_e32 v246, v11, v0
	ds_read2_b64 v[0:3], v186 offset1:49
	ds_read2_b64 v[240:243], v52 offset0:76 offset1:125
	v_sub_f32_e32 v136, v11, v136
	s_waitcnt lgkmcnt(1)
	v_add_f32_e32 v8, v244, v0
	v_add_f32_e32 v0, v35, v247
	;; [unrolled: 1-line block ×12, first 2 shown]
	ds_read2_b64 v[0:3], v186 offset0:98 offset1:147
	s_waitcnt lgkmcnt(1)
	v_add_f32_e32 v204, v240, v228
	v_add_f32_e32 v205, v241, v229
	v_mov_b32_e32 v217, v8
	v_mov_b32_e32 v219, v9
	s_waitcnt lgkmcnt(0)
	v_add_f32_e32 v20, v252, v0
	v_add_f32_e32 v0, v119, v255
	;; [unrolled: 1-line block ×12, first 2 shown]
	ds_read2_b64 v[0:3], v186 offset0:196 offset1:245
	v_fmac_f32_e32 v217, 0xbf955555, v244
	v_fmac_f32_e32 v219, 0xbf955555, v246
	v_sub_f32_e32 v207, v240, v228
	v_sub_f32_e32 v206, v241, v229
	s_waitcnt lgkmcnt(0)
	v_add_f32_e32 v4, v38, v0
	v_add_f32_e32 v0, v143, v204
	;; [unrolled: 1-line block ×6, first 2 shown]
	ds_read_b64 v[0:1], v186 offset:18816
	s_waitcnt lgkmcnt(0)
	; wave barrier
	s_waitcnt lgkmcnt(0)
	scratch_load_dword v48, off, off offset:20 ; 4-byte Folded Reload
	v_add_f32_e32 v2, v202, v2
	v_add_f32_e32 v151, v242, v0
	;; [unrolled: 1-line block ×3, first 2 shown]
	v_sub_f32_e32 v149, v242, v0
	v_add_f32_e32 v0, v147, v151
	v_add_f32_e32 v24, v13, v0
	v_add_f32_e32 v0, v146, v150
	v_add_f32_e32 v25, v12, v0
	v_sub_f32_e32 v148, v243, v1
	v_add_f32_e32 v0, v24, v22
	v_add_f32_e32 v1, v25, v23
	v_sub_f32_e32 v22, v138, v231
	v_sub_f32_e32 v23, v231, v10
	;; [unrolled: 1-line block ×4, first 2 shown]
	v_add_f32_e32 v11, v14, v126
	v_sub_f32_e32 v14, v208, v14
	v_sub_f32_e32 v126, v126, v208
	v_add_f32_e32 v208, v11, v208
	v_add_f32_e32 v11, v15, v124
	v_sub_f32_e32 v124, v124, v209
	v_sub_f32_e32 v15, v209, v15
	v_add_f32_e32 v209, v11, v209
	v_mul_f32_e32 v220, 0x3f5ff5aa, v126
	v_mul_f32_e32 v221, 0x3f5ff5aa, v124
	;; [unrolled: 1-line block ×4, first 2 shown]
	v_fma_f32 v126, v126, s6, -v213
	v_fmac_f32_e32 v213, 0xbeae86e6, v14
	v_fmac_f32_e32 v220, 0x3eae86e6, v14
	v_fma_f32 v124, v124, s6, -v216
	v_fmac_f32_e32 v216, 0xbeae86e6, v15
	v_fmac_f32_e32 v221, 0x3eae86e6, v15
	v_fma_f32 v14, v22, s17, -v11
	v_fmac_f32_e32 v11, 0x3d64c772, v138
	v_fma_f32 v15, v212, s17, -v10
	v_fmac_f32_e32 v10, 0x3d64c772, v136
	v_add_f32_e32 v23, v11, v217
	v_add_f32_e32 v222, v10, v219
	;; [unrolled: 1-line block ×4, first 2 shown]
	v_fmac_f32_e32 v213, 0xbee1c552, v208
	v_fmac_f32_e32 v216, 0xbee1c552, v209
	;; [unrolled: 1-line block ×4, first 2 shown]
	v_add_f32_e32 v10, v23, v216
	v_sub_f32_e32 v11, v222, v213
	v_add_f32_e32 v14, v221, v223
	v_sub_f32_e32 v15, v226, v220
	v_fmac_f32_e32 v126, 0xbee1c552, v208
	v_fmac_f32_e32 v124, 0xbee1c552, v209
	v_add_f32_e32 v3, v203, v3
	s_waitcnt vmcnt(0)
	ds_write2_b64 v48, v[10:11], v[14:15] offset0:1 offset1:2
	v_mul_f32_e32 v10, 0x3d64c772, v138
	v_mul_f32_e32 v11, 0x3d64c772, v136
	v_fma_f32 v10, v22, s2, -v10
	v_fma_f32 v11, v212, s2, -v11
	v_add_f32_e32 v14, v10, v217
	v_add_f32_e32 v15, v11, v219
	v_sub_f32_e32 v10, v14, v124
	v_add_f32_e32 v11, v126, v15
	v_add_f32_e32 v14, v124, v14
	v_sub_f32_e32 v15, v15, v126
	ds_write2_b64 v48, v[10:11], v[14:15] offset0:3 offset1:4
	v_sub_f32_e32 v10, v223, v221
	v_add_f32_e32 v11, v220, v226
	v_sub_f32_e32 v14, v23, v216
	v_add_f32_e32 v15, v213, v222
	ds_write2_b64 v48, v[10:11], v[14:15] offset0:5 offset1:6
	ds_write_b64 v48, v[8:9]
	scratch_load_dword v48, off, off offset:16 ; 4-byte Folded Reload
	v_sub_f32_e32 v11, v30, v36
	v_sub_f32_e32 v23, v36, v210
	;; [unrolled: 1-line block ×8, first 2 shown]
	v_add_f32_e32 v10, v30, v36
	v_sub_f32_e32 v22, v210, v30
	v_sub_f32_e32 v34, v31, v44
	;; [unrolled: 1-line block ×3, first 2 shown]
	v_mul_f32_e32 v126, 0x3f08b237, v11
	v_mul_f32_e32 v136, 0x3f5ff5aa, v23
	v_add_f32_e32 v30, v10, v210
	v_add_f32_e32 v10, v31, v44
	v_sub_f32_e32 v31, v211, v31
	v_mov_b32_e32 v44, v26
	v_mov_b32_e32 v124, v27
	v_fma_f32 v23, v23, s6, -v126
	v_fmac_f32_e32 v126, 0xbeae86e6, v22
	v_fmac_f32_e32 v136, 0x3eae86e6, v22
	v_mul_f32_e32 v22, 0x3f08b237, v34
	v_mul_f32_e32 v34, 0x3f5ff5aa, v35
	;; [unrolled: 1-line block ×4, first 2 shown]
	v_add_f32_e32 v36, v10, v211
	v_fmac_f32_e32 v44, 0xbf955555, v248
	v_fmac_f32_e32 v124, 0xbf955555, v250
	v_fma_f32 v35, v35, s6, -v22
	v_fmac_f32_e32 v22, 0xbeae86e6, v31
	v_fmac_f32_e32 v34, 0x3eae86e6, v31
	v_fma_f32 v10, v14, s17, -v8
	v_fmac_f32_e32 v8, 0x3d64c772, v15
	v_fma_f32 v11, v16, s17, -v9
	v_fmac_f32_e32 v9, 0x3d64c772, v17
	v_add_f32_e32 v31, v8, v44
	v_add_f32_e32 v138, v9, v124
	v_add_f32_e32 v208, v10, v44
	v_add_f32_e32 v209, v11, v124
	v_fmac_f32_e32 v126, 0xbee1c552, v30
	v_fmac_f32_e32 v22, 0xbee1c552, v36
	;; [unrolled: 1-line block ×4, first 2 shown]
	v_add_f32_e32 v8, v31, v22
	v_sub_f32_e32 v9, v138, v126
	v_add_f32_e32 v10, v34, v208
	v_sub_f32_e32 v11, v209, v136
	v_fmac_f32_e32 v23, 0xbee1c552, v30
	v_fmac_f32_e32 v35, 0xbee1c552, v36
	v_sub_f32_e32 v30, v215, v41
	v_mov_b32_e32 v216, v51
	v_accvgpr_read_b32 v217, a6
	s_waitcnt vmcnt(0)
	ds_write2_b64 v48, v[8:9], v[10:11] offset0:1 offset1:2
	v_mul_f32_e32 v8, 0x3d64c772, v15
	v_mul_f32_e32 v9, 0x3d64c772, v17
	v_fma_f32 v8, v14, s2, -v8
	v_fma_f32 v9, v16, s2, -v9
	v_add_f32_e32 v10, v8, v44
	v_add_f32_e32 v11, v9, v124
	v_sub_f32_e32 v8, v10, v35
	v_add_f32_e32 v9, v23, v11
	v_add_f32_e32 v10, v35, v10
	v_sub_f32_e32 v11, v11, v23
	ds_write2_b64 v48, v[8:9], v[10:11] offset0:3 offset1:4
	v_sub_f32_e32 v8, v208, v34
	v_add_f32_e32 v9, v136, v209
	v_sub_f32_e32 v10, v31, v22
	v_add_f32_e32 v11, v126, v138
	ds_write2_b64 v48, v[8:9], v[10:11] offset0:5 offset1:6
	ds_write_b64 v48, v[26:27]
	scratch_load_dword v48, off, off offset:12 ; 4-byte Folded Reload
	v_sub_f32_e32 v11, v40, v93
	v_sub_f32_e32 v23, v93, v214
	;; [unrolled: 1-line block ×4, first 2 shown]
	v_add_f32_e32 v10, v40, v93
	v_sub_f32_e32 v22, v214, v40
	v_sub_f32_e32 v27, v41, v92
	;; [unrolled: 1-line block ×3, first 2 shown]
	v_mul_f32_e32 v35, 0x3f08b237, v11
	v_mul_f32_e32 v36, 0x3f5ff5aa, v23
	v_sub_f32_e32 v14, v95, v251
	v_sub_f32_e32 v15, v32, v95
	;; [unrolled: 1-line block ×4, first 2 shown]
	v_add_f32_e32 v26, v10, v214
	v_add_f32_e32 v10, v41, v92
	v_mov_b32_e32 v33, v20
	v_mov_b32_e32 v34, v21
	v_fma_f32 v23, v23, s6, -v35
	v_fmac_f32_e32 v35, 0xbeae86e6, v22
	v_fmac_f32_e32 v36, 0x3eae86e6, v22
	v_mul_f32_e32 v22, 0x3f08b237, v27
	v_mul_f32_e32 v27, 0x3f5ff5aa, v31
	;; [unrolled: 1-line block ×4, first 2 shown]
	v_add_f32_e32 v32, v10, v215
	v_fmac_f32_e32 v33, 0xbf955555, v252
	v_fmac_f32_e32 v34, 0xbf955555, v254
	v_fma_f32 v31, v31, s6, -v22
	v_fmac_f32_e32 v22, 0xbeae86e6, v30
	v_fmac_f32_e32 v27, 0x3eae86e6, v30
	v_fma_f32 v10, v14, s17, -v8
	v_fmac_f32_e32 v8, 0x3d64c772, v15
	v_fma_f32 v11, v16, s17, -v9
	v_fmac_f32_e32 v9, 0x3d64c772, v17
	v_add_f32_e32 v30, v8, v33
	v_add_f32_e32 v40, v9, v34
	;; [unrolled: 1-line block ×4, first 2 shown]
	v_fmac_f32_e32 v35, 0xbee1c552, v26
	v_fmac_f32_e32 v22, 0xbee1c552, v32
	v_fmac_f32_e32 v36, 0xbee1c552, v26
	v_fmac_f32_e32 v27, 0xbee1c552, v32
	v_add_f32_e32 v8, v30, v22
	v_sub_f32_e32 v9, v40, v35
	v_add_f32_e32 v10, v27, v41
	v_sub_f32_e32 v11, v44, v36
	v_fmac_f32_e32 v23, 0xbee1c552, v26
	v_fmac_f32_e32 v31, 0xbee1c552, v32
	v_mov_b32_e32 v32, v19
	v_fmac_f32_e32 v32, 0xbf955555, v6
	v_sub_f32_e32 v26, v218, v73
	s_waitcnt vmcnt(0)
	ds_write2_b64 v48, v[8:9], v[10:11] offset0:1 offset1:2
	v_mul_f32_e32 v8, 0x3d64c772, v15
	v_mul_f32_e32 v9, 0x3d64c772, v17
	v_fma_f32 v8, v14, s2, -v8
	v_fma_f32 v9, v16, s2, -v9
	v_add_f32_e32 v10, v8, v33
	v_add_f32_e32 v11, v9, v34
	v_sub_f32_e32 v8, v10, v31
	v_add_f32_e32 v9, v23, v11
	v_add_f32_e32 v10, v31, v10
	v_sub_f32_e32 v11, v11, v23
	ds_write2_b64 v48, v[8:9], v[10:11] offset0:3 offset1:4
	v_sub_f32_e32 v8, v41, v27
	v_add_f32_e32 v9, v36, v44
	v_sub_f32_e32 v10, v30, v22
	v_add_f32_e32 v11, v35, v40
	ds_write2_b64 v48, v[8:9], v[10:11] offset0:5 offset1:6
	ds_write_b64 v48, v[20:21]
	scratch_load_dword v40, off, off offset:28 ; 4-byte Folded Reload
	v_sub_f32_e32 v11, v72, v117
	v_sub_f32_e32 v21, v117, v47
	v_sub_f32_e32 v8, v255, v42
	v_sub_f32_e32 v9, v201, v43
	v_add_f32_e32 v10, v72, v117
	v_sub_f32_e32 v20, v47, v72
	v_sub_f32_e32 v23, v73, v116
	;; [unrolled: 1-line block ×3, first 2 shown]
	v_mul_f32_e32 v6, 0x3f08b237, v11
	v_mul_f32_e32 v33, 0x3f5ff5aa, v21
	v_sub_f32_e32 v14, v119, v255
	v_sub_f32_e32 v15, v42, v119
	;; [unrolled: 1-line block ×4, first 2 shown]
	v_add_f32_e32 v22, v10, v47
	v_add_f32_e32 v10, v73, v116
	v_mov_b32_e32 v31, v18
	v_fma_f32 v21, v21, s6, -v6
	v_fmac_f32_e32 v6, 0xbeae86e6, v20
	v_fmac_f32_e32 v33, 0x3eae86e6, v20
	v_mul_f32_e32 v20, 0x3f08b237, v23
	v_mul_f32_e32 v23, 0x3f5ff5aa, v27
	;; [unrolled: 1-line block ×4, first 2 shown]
	v_add_f32_e32 v30, v10, v218
	v_fmac_f32_e32 v31, 0xbf955555, v200
	v_fma_f32 v27, v27, s6, -v20
	v_fmac_f32_e32 v20, 0xbeae86e6, v26
	v_fmac_f32_e32 v23, 0x3eae86e6, v26
	v_fma_f32 v10, v14, s17, -v8
	v_fmac_f32_e32 v8, 0x3d64c772, v15
	v_fma_f32 v11, v16, s17, -v9
	v_fmac_f32_e32 v9, 0x3d64c772, v17
	v_add_f32_e32 v26, v8, v31
	v_add_f32_e32 v34, v9, v32
	;; [unrolled: 1-line block ×4, first 2 shown]
	v_fmac_f32_e32 v6, 0xbee1c552, v22
	v_fmac_f32_e32 v20, 0xbee1c552, v30
	;; [unrolled: 1-line block ×4, first 2 shown]
	v_add_f32_e32 v8, v26, v20
	v_sub_f32_e32 v9, v34, v6
	v_add_f32_e32 v10, v23, v35
	v_sub_f32_e32 v11, v36, v33
	v_fmac_f32_e32 v21, 0xbee1c552, v22
	v_fmac_f32_e32 v27, 0xbee1c552, v30
	v_sub_f32_e32 v22, v125, v46
	v_mov_b32_e32 v218, v58
	s_waitcnt vmcnt(0)
	ds_write2_b64 v40, v[8:9], v[10:11] offset0:1 offset1:2
	v_mul_f32_e32 v8, 0x3d64c772, v15
	v_mul_f32_e32 v9, 0x3d64c772, v17
	v_fma_f32 v8, v14, s2, -v8
	v_fma_f32 v9, v16, s2, -v9
	v_add_f32_e32 v10, v8, v31
	v_add_f32_e32 v11, v9, v32
	v_sub_f32_e32 v8, v10, v27
	v_add_f32_e32 v9, v21, v11
	v_add_f32_e32 v10, v27, v10
	v_sub_f32_e32 v11, v11, v21
	ds_write2_b64 v40, v[8:9], v[10:11] offset0:3 offset1:4
	v_sub_f32_e32 v8, v35, v23
	v_add_f32_e32 v9, v33, v36
	v_sub_f32_e32 v10, v26, v20
	v_add_f32_e32 v11, v6, v34
	ds_write2_b64 v40, v[8:9], v[10:11] offset0:5 offset1:6
	ds_write_b64 v40, v[18:19]
	scratch_load_dword v34, off, off offset:8 ; 4-byte Folded Reload
	v_sub_f32_e32 v11, v224, v127
	v_sub_f32_e32 v18, v127, v45
	v_mov_b32_e32 v27, v5
	v_sub_f32_e32 v8, v37, v82
	v_sub_f32_e32 v9, v39, v83
	v_add_f32_e32 v10, v224, v127
	v_sub_f32_e32 v17, v45, v224
	v_sub_f32_e32 v20, v230, v125
	v_fmac_f32_e32 v27, 0xbf955555, v7
	v_mul_f32_e32 v7, 0x3f08b237, v11
	v_mul_f32_e32 v30, 0x3f5ff5aa, v18
	v_sub_f32_e32 v6, v139, v37
	v_sub_f32_e32 v14, v82, v139
	;; [unrolled: 1-line block ×4, first 2 shown]
	v_add_f32_e32 v19, v10, v45
	v_add_f32_e32 v10, v230, v125
	v_sub_f32_e32 v21, v46, v230
	v_mov_b32_e32 v26, v4
	v_fma_f32 v18, v18, s6, -v7
	v_fmac_f32_e32 v7, 0xbeae86e6, v17
	v_fmac_f32_e32 v30, 0x3eae86e6, v17
	v_mul_f32_e32 v17, 0x3f08b237, v20
	v_mul_f32_e32 v20, 0x3f5ff5aa, v22
	v_mul_f32_e32 v8, 0x3f4a47b2, v8
	v_mul_f32_e32 v9, 0x3f4a47b2, v9
	v_add_f32_e32 v23, v10, v46
	v_fmac_f32_e32 v26, 0xbf955555, v38
	v_fma_f32 v22, v22, s6, -v17
	v_fmac_f32_e32 v17, 0xbeae86e6, v21
	v_fmac_f32_e32 v20, 0x3eae86e6, v21
	v_fma_f32 v10, v6, s17, -v8
	v_fmac_f32_e32 v8, 0x3d64c772, v14
	v_fma_f32 v11, v15, s17, -v9
	v_fmac_f32_e32 v9, 0x3d64c772, v16
	v_add_f32_e32 v21, v8, v26
	v_add_f32_e32 v31, v9, v27
	;; [unrolled: 1-line block ×4, first 2 shown]
	v_fmac_f32_e32 v7, 0xbee1c552, v19
	v_fmac_f32_e32 v17, 0xbee1c552, v23
	;; [unrolled: 1-line block ×4, first 2 shown]
	v_add_f32_e32 v8, v21, v17
	v_sub_f32_e32 v9, v31, v7
	v_add_f32_e32 v10, v20, v32
	v_sub_f32_e32 v11, v33, v30
	v_fmac_f32_e32 v18, 0xbee1c552, v19
	v_fmac_f32_e32 v22, 0xbee1c552, v23
	v_sub_f32_e32 v19, v140, v206
	s_waitcnt vmcnt(0)
	ds_write2_b64 v34, v[8:9], v[10:11] offset0:1 offset1:2
	v_mul_f32_e32 v8, 0x3d64c772, v14
	v_fma_f32 v6, v6, s2, -v8
	v_mul_f32_e32 v8, 0x3d64c772, v16
	v_fma_f32 v8, v15, s2, -v8
	v_add_f32_e32 v6, v6, v26
	v_add_f32_e32 v11, v8, v27
	v_sub_f32_e32 v8, v6, v22
	v_add_f32_e32 v9, v18, v11
	v_add_f32_e32 v10, v22, v6
	v_sub_f32_e32 v11, v11, v18
	ds_write2_b64 v34, v[8:9], v[10:11] offset0:3 offset1:4
	v_sub_f32_e32 v8, v32, v20
	v_add_f32_e32 v9, v30, v33
	v_sub_f32_e32 v10, v21, v17
	v_add_f32_e32 v11, v7, v31
	ds_write2_b64 v34, v[8:9], v[10:11] offset0:5 offset1:6
	ds_write_b64 v34, v[4:5]
	scratch_load_dword v32, off, off offset:4 ; 4-byte Folded Reload
	v_sub_f32_e32 v9, v153, v141
	v_sub_f32_e32 v15, v141, v207
	;; [unrolled: 1-line block ×4, first 2 shown]
	v_add_f32_e32 v8, v153, v141
	v_sub_f32_e32 v14, v207, v153
	v_sub_f32_e32 v17, v152, v140
	v_mul_f32_e32 v23, 0x3f08b237, v9
	v_mul_f32_e32 v26, 0x3f5ff5aa, v15
	v_sub_f32_e32 v6, v143, v204
	v_sub_f32_e32 v7, v155, v143
	;; [unrolled: 1-line block ×4, first 2 shown]
	v_add_f32_e32 v16, v8, v207
	v_add_f32_e32 v8, v152, v140
	v_sub_f32_e32 v18, v206, v152
	v_mov_b32_e32 v21, v2
	v_mov_b32_e32 v22, v3
	v_fma_f32 v15, v15, s6, -v23
	v_fmac_f32_e32 v23, 0xbeae86e6, v14
	v_fmac_f32_e32 v26, 0x3eae86e6, v14
	v_mul_f32_e32 v14, 0x3f08b237, v17
	v_mul_f32_e32 v17, 0x3f5ff5aa, v19
	;; [unrolled: 1-line block ×4, first 2 shown]
	v_add_f32_e32 v20, v8, v206
	v_fmac_f32_e32 v21, 0xbf955555, v202
	v_fmac_f32_e32 v22, 0xbf955555, v203
	v_fma_f32 v19, v19, s6, -v14
	v_fmac_f32_e32 v14, 0xbeae86e6, v18
	v_fmac_f32_e32 v17, 0x3eae86e6, v18
	v_fma_f32 v8, v6, s17, -v4
	v_fmac_f32_e32 v4, 0x3d64c772, v7
	v_fma_f32 v9, v10, s17, -v5
	v_fmac_f32_e32 v5, 0x3d64c772, v11
	v_add_f32_e32 v18, v4, v21
	v_add_f32_e32 v27, v5, v22
	;; [unrolled: 1-line block ×4, first 2 shown]
	v_fmac_f32_e32 v23, 0xbee1c552, v16
	v_fmac_f32_e32 v14, 0xbee1c552, v20
	;; [unrolled: 1-line block ×4, first 2 shown]
	v_add_f32_e32 v4, v18, v14
	v_sub_f32_e32 v5, v27, v23
	v_add_f32_e32 v8, v17, v30
	v_sub_f32_e32 v9, v31, v26
	v_fmac_f32_e32 v15, 0xbee1c552, v16
	v_fmac_f32_e32 v19, 0xbee1c552, v20
	s_waitcnt vmcnt(0)
	ds_write2_b64 v32, v[4:5], v[8:9] offset0:1 offset1:2
	v_mul_f32_e32 v4, 0x3d64c772, v7
	v_mul_f32_e32 v5, 0x3d64c772, v11
	v_fma_f32 v4, v6, s2, -v4
	v_fma_f32 v5, v10, s2, -v5
	v_add_f32_e32 v6, v4, v21
	v_add_f32_e32 v7, v5, v22
	v_sub_f32_e32 v4, v6, v19
	v_add_f32_e32 v5, v15, v7
	v_add_f32_e32 v8, v19, v6
	v_sub_f32_e32 v9, v7, v15
	ds_write2_b64 v32, v[4:5], v[8:9] offset0:3 offset1:4
	v_sub_f32_e32 v4, v30, v17
	v_add_f32_e32 v5, v26, v31
	v_sub_f32_e32 v8, v18, v14
	v_add_f32_e32 v9, v23, v27
	ds_write2_b64 v32, v[4:5], v[8:9] offset0:5 offset1:6
	ds_write_b64 v32, v[2:3]
	v_mov_b32_e32 v17, v0
	v_fmac_f32_e32 v17, 0xbf955555, v24
	scratch_load_dword v24, off, off        ; 4-byte Folded Reload
	v_sub_f32_e32 v5, v28, v145
	v_sub_f32_e32 v11, v145, v149
	;; [unrolled: 1-line block ×5, first 2 shown]
	v_add_f32_e32 v4, v28, v145
	v_sub_f32_e32 v10, v149, v28
	v_sub_f32_e32 v13, v29, v144
	;; [unrolled: 1-line block ×3, first 2 shown]
	v_mul_f32_e32 v19, 0x3f08b237, v5
	v_mul_f32_e32 v20, 0x3f5ff5aa, v11
	v_sub_f32_e32 v6, v147, v151
	v_sub_f32_e32 v8, v146, v150
	;; [unrolled: 1-line block ×3, first 2 shown]
	v_add_f32_e32 v12, v4, v149
	v_add_f32_e32 v4, v29, v144
	v_sub_f32_e32 v14, v148, v29
	v_mov_b32_e32 v18, v1
	v_fma_f32 v11, v11, s6, -v19
	v_fmac_f32_e32 v19, 0xbeae86e6, v10
	v_fmac_f32_e32 v20, 0x3eae86e6, v10
	v_mul_f32_e32 v10, 0x3f08b237, v13
	v_mul_f32_e32 v13, 0x3f5ff5aa, v15
	v_mul_f32_e32 v2, 0x3f4a47b2, v2
	v_mul_f32_e32 v3, 0x3f4a47b2, v3
	v_add_f32_e32 v16, v4, v148
	v_fmac_f32_e32 v18, 0xbf955555, v25
	v_fma_f32 v15, v15, s6, -v10
	v_fmac_f32_e32 v10, 0xbeae86e6, v14
	v_fmac_f32_e32 v13, 0x3eae86e6, v14
	v_fma_f32 v4, v6, s17, -v2
	v_fmac_f32_e32 v2, 0x3d64c772, v7
	v_fma_f32 v5, v8, s17, -v3
	v_fmac_f32_e32 v3, 0x3d64c772, v9
	v_add_f32_e32 v14, v2, v17
	v_add_f32_e32 v21, v3, v18
	;; [unrolled: 1-line block ×4, first 2 shown]
	v_fmac_f32_e32 v19, 0xbee1c552, v12
	v_fmac_f32_e32 v10, 0xbee1c552, v16
	;; [unrolled: 1-line block ×4, first 2 shown]
	v_add_f32_e32 v2, v14, v10
	v_sub_f32_e32 v3, v21, v19
	v_add_f32_e32 v4, v13, v22
	v_sub_f32_e32 v5, v23, v20
	v_fmac_f32_e32 v11, 0xbee1c552, v12
	v_fmac_f32_e32 v15, 0xbee1c552, v16
	v_mov_b32_e32 v12, v49
	s_waitcnt vmcnt(0)
	ds_write2_b64 v24, v[2:3], v[4:5] offset0:1 offset1:2
	v_mul_f32_e32 v2, 0x3d64c772, v7
	v_mul_f32_e32 v3, 0x3d64c772, v9
	v_fma_f32 v2, v6, s2, -v2
	v_fma_f32 v3, v8, s2, -v3
	v_add_f32_e32 v4, v2, v17
	v_add_f32_e32 v5, v3, v18
	v_sub_f32_e32 v2, v4, v15
	v_add_f32_e32 v3, v11, v5
	v_add_f32_e32 v4, v15, v4
	v_sub_f32_e32 v5, v5, v11
	ds_write2_b64 v24, v[2:3], v[4:5] offset0:3 offset1:4
	v_sub_f32_e32 v2, v22, v13
	v_add_f32_e32 v3, v20, v23
	v_sub_f32_e32 v4, v14, v10
	v_add_f32_e32 v5, v19, v21
	ds_write2_b64 v24, v[2:3], v[4:5] offset0:5 offset1:6
	ds_write_b64 v24, v[0:1]
	s_waitcnt lgkmcnt(0)
	; wave barrier
	s_waitcnt lgkmcnt(0)
	ds_read2_b64 v[240:243], v225 offset0:38 offset1:87
	ds_read2_b64 v[246:249], v58 offset0:84 offset1:133
	;; [unrolled: 1-line block ×5, first 2 shown]
	s_waitcnt lgkmcnt(4)
	v_mul_f32_e32 v0, v105, v242
	v_fma_f32 v139, v104, v243, -v0
	ds_read2_b64 v[0:3], v52 offset0:174 offset1:223
	v_mul_f32_e32 v138, v105, v243
	v_fmac_f32_e32 v138, v104, v242
	s_waitcnt lgkmcnt(4)
	v_mul_f32_e32 v148, v97, v249
	s_waitcnt lgkmcnt(3)
	v_mul_f32_e32 v150, v99, v5
	;; [unrolled: 2-line block ×3, first 2 shown]
	v_fmac_f32_e32 v146, v106, v0
	v_mul_f32_e32 v0, v107, v0
	v_fma_f32 v147, v106, v1, -v0
	v_mul_f32_e32 v0, v97, v248
	v_fma_f32 v149, v96, v249, -v0
	v_mul_f32_e32 v0, v99, v4
	ds_read2_b64 v[242:245], v49 offset0:130 offset1:179
	v_fmac_f32_e32 v148, v96, v248
	v_fmac_f32_e32 v150, v98, v4
	v_fma_f32 v151, v98, v5, -v0
	ds_read2_b64 v[96:99], v225 offset0:136 offset1:185
	s_waitcnt lgkmcnt(1)
	v_mul_f32_e32 v0, v129, v244
	v_mul_f32_e32 v1, v111, v2
	v_fma_f32 v153, v128, v245, -v0
	v_mul_f32_e32 v154, v131, v19
	v_mul_f32_e32 v0, v131, v18
	v_fma_f32 v34, v110, v3, -v1
	s_waitcnt lgkmcnt(0)
	v_mul_f32_e32 v1, v109, v96
	v_fmac_f32_e32 v154, v130, v18
	v_fma_f32 v155, v130, v19, -v0
	v_fma_f32 v127, v108, v97, -v1
	v_mul_f32_e32 v130, v103, v7
	v_mul_f32_e32 v1, v103, v6
	v_fmac_f32_e32 v130, v102, v6
	v_fma_f32 v140, v102, v7, -v1
	ds_read2_b64 v[102:105], v54 offset0:54 offset1:103
	v_mul_f32_e32 v117, v109, v97
	v_fmac_f32_e32 v117, v108, v96
	ds_read2_b64 v[94:97], v56 offset0:100 offset1:149
	v_mul_f32_e32 v0, v111, v3
	v_fmac_f32_e32 v0, v110, v2
	v_accvgpr_read_b32 v2, a138
	s_waitcnt lgkmcnt(1)
	v_mul_f32_e32 v1, v101, v102
	v_accvgpr_read_b32 v5, a141
	v_mul_f32_e32 v141, v101, v103
	v_fma_f32 v142, v100, v103, -v1
	v_accvgpr_read_b32 v3, a139
	v_accvgpr_read_b32 v4, a140
	v_mul_f32_e32 v1, v5, v20
	v_fmac_f32_e32 v141, v100, v102
	v_mul_f32_e32 v143, v5, v21
	v_fma_f32 v144, v4, v21, -v1
	s_waitcnt lgkmcnt(0)
	v_mul_f32_e32 v145, v3, v95
	v_mul_f32_e32 v1, v3, v94
	ds_read2_b64 v[100:103], v51 offset0:16 offset1:65
	v_fmac_f32_e32 v143, v4, v20
	v_fmac_f32_e32 v145, v2, v94
	v_fma_f32 v40, v2, v95, -v1
	ds_read2_b64 v[2:5], v54 offset0:152 offset1:201
	ds_read2_b64 v[92:95], v57 offset0:190 offset1:239
	;; [unrolled: 1-line block ×3, first 2 shown]
	s_waitcnt lgkmcnt(3)
	v_mul_f32_e32 v41, v115, v103
	v_fmac_f32_e32 v41, v114, v102
	v_mov_b32_e32 v7, v114
	v_mov_b32_e32 v114, v157
	s_waitcnt lgkmcnt(2)
	v_mov_b32_e32 v10, v3
	v_mov_b32_e32 v11, v102
	v_mul_f32_e32 v152, v129, v245
	v_mov_b32_e32 v6, v156
	v_mov_b32_e32 v8, v2
	v_mov_b32_e32 v9, v103
	v_pk_mul_f32 v[10:11], v[114:115], v[10:11]
	v_accvgpr_read_b32 v46, a190
	v_fmac_f32_e32 v152, v128, v244
	v_pk_fma_f32 v[244:245], v[6:7], v[8:9], v[10:11] neg_lo:[0,0,1] neg_hi:[0,0,1]
	v_pk_fma_f32 v[118:119], v[156:157], v[2:3], v[10:11]
	v_mov_b32_e32 v7, v156
	v_mov_b32_e32 v156, v113
	;; [unrolled: 1-line block ×4, first 2 shown]
	v_accvgpr_read_b32 v47, a191
	v_mov_b32_e32 v6, v112
	v_mov_b32_e32 v8, v22
	;; [unrolled: 1-line block ×3, first 2 shown]
	v_pk_mul_f32 v[2:3], v[156:157], v[10:11]
	s_waitcnt lgkmcnt(0)
	v_mul_f32_e32 v255, v47, v109
	v_pk_fma_f32 v[252:253], v[6:7], v[8:9], v[2:3]
	v_pk_fma_f32 v[60:61], v[6:7], v[8:9], v[2:3] neg_lo:[0,0,1] neg_hi:[0,0,1]
	v_fmac_f32_e32 v255, v46, v108
	v_mov_b32_e32 v7, v109
	v_mov_b32_e32 v9, v108
	ds_read2_b64 v[106:109], v187 offset0:108 offset1:157
	ds_read2_b64 v[200:203], v51 offset0:114 offset1:163
	v_mov_b32_e32 v3, v46
	v_mov_b32_e32 v46, v158
	;; [unrolled: 1-line block ×4, first 2 shown]
	v_accvgpr_read_b32 v49, a193
	v_mov_b32_e32 v6, v95
	v_pk_mul_f32 v[8:9], v[46:47], v[8:9]
	v_accvgpr_read_b32 v48, a192
	v_pk_fma_f32 v[20:21], v[2:3], v[6:7], v[8:9]
	v_pk_fma_f32 v[128:129], v[2:3], v[6:7], v[8:9] neg_lo:[0,0,1] neg_hi:[0,0,1]
	v_mov_b32_e32 v3, v158
	v_mov_b32_e32 v158, v49
	s_waitcnt lgkmcnt(1)
	v_mov_b32_e32 v6, v109
	v_mov_b32_e32 v7, v94
	v_pk_mul_f32 v[6:7], v[158:159], v[6:7]
	v_mov_b32_e32 v2, v48
	v_mov_b32_e32 v8, v108
	;; [unrolled: 1-line block ×3, first 2 shown]
	v_pk_fma_f32 v[158:159], v[2:3], v[8:9], v[6:7]
	v_pk_fma_f32 v[250:251], v[2:3], v[8:9], v[6:7] neg_lo:[0,0,1] neg_hi:[0,0,1]
	v_mov_b32_e32 v2, v161
	v_accvgpr_read_b32 v3, a161
	v_mov_b32_e32 v6, v5
	s_waitcnt lgkmcnt(0)
	v_mov_b32_e32 v7, v200
	v_pk_mul_f32 v[2:3], v[2:3], v[6:7]
	v_mov_b32_e32 v6, v160
	v_accvgpr_read_b32 v7, a160
	v_mov_b32_e32 v8, v4
	v_mov_b32_e32 v9, v201
	v_pk_fma_f32 v[42:43], v[6:7], v[8:9], v[2:3] neg_lo:[0,0,1] neg_hi:[0,0,1]
	v_accvgpr_read_b32 v6, a158
	v_mul_f32_e32 v1, v113, v22
	v_accvgpr_read_b32 v7, a159
	v_accvgpr_read_b32 v9, a161
	v_fma_f32 v116, v112, v23, -v1
	v_accvgpr_read_b32 v8, a160
	v_mul_f32_e32 v1, v7, v24
	v_mul_f32_e32 v115, v9, v201
	v_pk_fma_f32 v[28:29], v[160:161], v[4:5], v[2:3]
	v_mov_b32_e32 v3, v5
	v_mov_b32_e32 v5, v4
	;; [unrolled: 1-line block ×4, first 2 shown]
	v_fma_f32 v244, v6, v25, -v1
	v_fmac_f32_e32 v115, v8, v200
	v_mov_b32_e32 v8, v7
	v_mov_b32_e32 v9, v161
	ds_read2_b64 v[22:25], v12 offset0:32 offset1:81
	v_pk_mul_f32 v[4:5], v[8:9], v[4:5]
	v_mov_b32_e32 v7, v160
	v_mul_f32_e32 v249, v177, v111
	v_pk_fma_f32 v[156:157], v[6:7], v[2:3], v[4:5]
	v_pk_fma_f32 v[58:59], v[6:7], v[2:3], v[4:5] neg_lo:[0,0,1] neg_hi:[0,0,1]
	v_fmac_f32_e32 v249, v176, v110
	v_mov_b32_e32 v3, v111
	v_mov_b32_e32 v5, v110
	ds_read2_b64 v[110:113], v187 offset0:206 offset1:255
	ds_read2_b64 v[204:207], v52 offset0:76 offset1:125
	;; [unrolled: 1-line block ×3, first 2 shown]
	v_mov_b32_e32 v6, v162
	v_mov_b32_e32 v7, v177
	s_waitcnt lgkmcnt(3)
	v_mov_b32_e32 v4, v22
	v_pk_mul_f32 v[4:5], v[6:7], v[4:5]
	v_mov_b32_e32 v6, v163
	v_mov_b32_e32 v7, v176
	v_mov_b32_e32 v2, v23
	ds_read2_b64 v[212:215], v53 offset0:168 offset1:217
	v_pk_fma_f32 v[176:177], v[6:7], v[2:3], v[4:5]
	v_pk_fma_f32 v[62:63], v[6:7], v[2:3], v[4:5] neg_lo:[0,0,1] neg_hi:[0,0,1]
	v_mov_b32_e32 v3, v162
	v_mov_b32_e32 v162, v179
	s_waitcnt lgkmcnt(3)
	v_mov_b32_e32 v4, v111
	v_mov_b32_e32 v5, v22
	v_pk_mul_f32 v[4:5], v[162:163], v[4:5]
	v_mov_b32_e32 v2, v178
	v_mov_b32_e32 v6, v110
	;; [unrolled: 1-line block ×3, first 2 shown]
	v_pk_fma_f32 v[160:161], v[2:3], v[6:7], v[4:5]
	v_pk_fma_f32 v[4:5], v[2:3], v[6:7], v[4:5] neg_lo:[0,0,1] neg_hi:[0,0,1]
	v_accvgpr_read_b32 v2, a173
	v_mov_b32_e32 v3, v189
	s_waitcnt lgkmcnt(2)
	v_mov_b32_e32 v6, v205
	s_waitcnt lgkmcnt(1)
	v_mov_b32_e32 v7, v208
	v_pk_mul_f32 v[2:3], v[2:3], v[6:7]
	v_accvgpr_read_b32 v6, a172
	v_mov_b32_e32 v7, v188
	v_mov_b32_e32 v8, v204
	v_mov_b32_e32 v9, v209
	v_pk_fma_f32 v[22:23], v[6:7], v[8:9], v[2:3]
	v_pk_fma_f32 v[18:19], v[6:7], v[8:9], v[2:3] neg_lo:[0,0,1] neg_hi:[0,0,1]
	v_mov_b32_e32 v2, v190
	v_mov_b32_e32 v3, v173
	;; [unrolled: 1-line block ×3, first 2 shown]
	s_waitcnt lgkmcnt(0)
	v_mov_b32_e32 v7, v212
	v_pk_mul_f32 v[2:3], v[2:3], v[6:7]
	v_mov_b32_e32 v6, v191
	v_mov_b32_e32 v7, v172
	;; [unrolled: 1-line block ×4, first 2 shown]
	v_pk_fma_f32 v[94:95], v[6:7], v[8:9], v[2:3]
	v_pk_fma_f32 v[50:51], v[6:7], v[8:9], v[2:3] neg_lo:[0,0,1] neg_hi:[0,0,1]
	v_accvgpr_read_b32 v6, a172
	v_mov_b32_e32 v201, v12
	v_accvgpr_read_b32 v9, a175
	v_accvgpr_read_b32 v12, a172
	;; [unrolled: 1-line block ×4, first 2 shown]
	v_mul_f32_e32 v131, v9, v203
	v_accvgpr_read_b32 v15, a175
	v_fmac_f32_e32 v131, v8, v202
	v_accvgpr_read_b32 v14, a174
	v_mov_b32_e32 v7, v202
	v_mov_b32_e32 v8, v189
	v_mov_b32_e32 v9, v15
	v_mov_b32_e32 v6, v209
	v_mov_b32_e32 v3, v203
	v_pk_mul_f32 v[8:9], v[8:9], v[6:7]
	v_mov_b32_e32 v6, v188
	v_mov_b32_e32 v7, v14
	;; [unrolled: 1-line block ×3, first 2 shown]
	v_mul_f32_e32 v1, v179, v110
	v_accvgpr_read_b32 v13, a173
	v_pk_fma_f32 v[6:7], v[6:7], v[2:3], v[8:9] neg_lo:[0,0,1] neg_hi:[0,0,1]
	v_mov_b32_e32 v3, v190
	v_mov_b32_e32 v190, v175
	v_pk_fma_f32 v[162:163], v[188:189], v[208:209], v[8:9]
	v_mov_b32_e32 v8, v113
	v_mov_b32_e32 v9, v24
	v_fma_f32 v126, v178, v111, -v1
	v_mul_f32_e32 v1, v175, v112
	v_accvgpr_read_b32 v14, a176
	v_pk_mul_f32 v[8:9], v[190:191], v[8:9]
	v_mov_b32_e32 v2, v174
	v_fma_f32 v4, v174, v113, -v1
	v_mov_b32_e32 v10, v112
	v_mov_b32_e32 v11, v25
	v_mul_f32_e32 v1, v13, v204
	v_accvgpr_read_b32 v17, a179
	v_pk_fma_f32 v[188:189], v[2:3], v[10:11], v[8:9]
	v_pk_fma_f32 v[10:11], v[2:3], v[10:11], v[8:9] neg_lo:[0,0,1] neg_hi:[0,0,1]
	v_fma_f32 v128, v12, v205, -v1
	v_accvgpr_read_b32 v16, a178
	v_mov_b32_e32 v9, v246
	v_mov_b32_e32 v12, v121
	;; [unrolled: 1-line block ×4, first 2 shown]
	v_accvgpr_read_b32 v15, a177
	v_mul_f32_e32 v1, v17, v247
	v_mov_b32_e32 v3, v247
	v_pk_mul_f32 v[8:9], v[12:13], v[8:9]
	v_mov_b32_e32 v12, v120
	v_mov_b32_e32 v13, v16
	;; [unrolled: 1-line block ×3, first 2 shown]
	v_fmac_f32_e32 v1, v16, v246
	v_pk_fma_f32 v[174:175], v[12:13], v[2:3], v[8:9] neg_lo:[0,0,1] neg_hi:[0,0,1]
	v_pk_fma_f32 v[2:3], v[120:121], v[210:211], v[8:9]
	v_mov_b32_e32 v13, v210
	v_mov_b32_e32 v12, v207
	;; [unrolled: 1-line block ×6, first 2 shown]
	v_mul_f32_e32 v3, v15, v206
	v_pk_mul_f32 v[12:13], v[16:17], v[12:13]
	v_mov_b32_e32 v15, v120
	v_fma_f32 v18, v14, v207, -v3
	v_pk_fma_f32 v[26:27], v[14:15], v[8:9], v[12:13]
	v_pk_fma_f32 v[8:9], v[14:15], v[8:9], v[12:13] neg_lo:[0,0,1] neg_hi:[0,0,1]
	v_mov_b32_e32 v15, v214
	v_mov_b32_e32 v16, v122
	;; [unrolled: 1-line block ×5, first 2 shown]
	v_pk_mul_f32 v[14:15], v[16:17], v[14:15]
	v_mov_b32_e32 v16, v123
	v_mov_b32_e32 v17, v192
	;; [unrolled: 1-line block ×3, first 2 shown]
	v_pk_fma_f32 v[102:103], v[16:17], v[12:13], v[14:15]
	v_pk_fma_f32 v[184:185], v[16:17], v[12:13], v[14:15] neg_lo:[0,0,1] neg_hi:[0,0,1]
	ds_read_b64 v[14:15], v186 offset:18816
	v_mov_b32_e32 v13, v122
	v_mov_b32_e32 v122, v195
	;; [unrolled: 1-line block ×3, first 2 shown]
	v_mul_f32_e32 v179, v173, v213
	s_waitcnt lgkmcnt(0)
	v_mov_b32_e32 v16, v15
	v_mul_f32_e32 v3, v195, v14
	v_pk_mul_f32 v[16:17], v[122:123], v[16:17]
	v_mov_b32_e32 v12, v194
	v_fma_f32 v42, v194, v15, -v3
	v_mov_b32_e32 v15, v243
	ds_read2_b64 v[110:113], v186 offset1:49
	v_fmac_f32_e32 v179, v172, v212
	v_pk_fma_f32 v[172:173], v[12:13], v[14:15], v[16:17]
	v_pk_fma_f32 v[12:13], v[12:13], v[14:15], v[16:17] neg_lo:[0,0,1] neg_hi:[0,0,1]
	v_add_f32_e32 v21, v117, v143
	v_add_f32_e32 v23, v0, v145
	;; [unrolled: 1-line block ×17, first 2 shown]
	v_sub_f32_e32 v33, v146, v152
	v_sub_f32_e32 v37, v150, v148
	v_add_f32_e32 v10, v8, v10
	v_add_f32_e32 v16, v15, v16
	;; [unrolled: 1-line block ×3, first 2 shown]
	v_sub_f32_e32 v17, v138, v154
	v_sub_f32_e32 v36, v147, v153
	;; [unrolled: 1-line block ×9, first 2 shown]
	v_add_f32_e32 v15, v37, v33
	s_waitcnt lgkmcnt(0)
	v_add_f32_e32 v124, v10, v110
	v_sub_f32_e32 v32, v139, v155
	v_sub_f32_e32 v44, v37, v33
	;; [unrolled: 1-line block ×4, first 2 shown]
	v_add_f32_e32 v15, v15, v17
	v_add_f32_e32 v17, v38, v36
	;; [unrolled: 1-line block ×3, first 2 shown]
	v_sub_f32_e32 v45, v38, v36
	v_sub_f32_e32 v38, v32, v38
	;; [unrolled: 1-line block ×3, first 2 shown]
	v_add_f32_e32 v17, v17, v32
	v_mov_b32_e32 v32, v124
	v_fmac_f32_e32 v32, 0xbf955555, v10
	v_mov_b32_e32 v10, v125
	v_mul_f32_e32 v3, 0x3f4a47b2, v3
	v_mul_f32_e32 v12, 0x3f4a47b2, v12
	;; [unrolled: 1-line block ×4, first 2 shown]
	v_fmac_f32_e32 v10, 0xbf955555, v16
	v_fma_f32 v16, v39, s17, -v3
	v_fmac_f32_e32 v3, 0x3d64c772, v6
	v_fma_f32 v46, v8, s17, -v12
	;; [unrolled: 2-line block ×3, first 2 shown]
	v_fma_f32 v72, v36, s6, -v45
	v_mul_f32_e32 v6, 0x3d64c772, v6
	v_mul_f32_e32 v14, 0x3d64c772, v14
	;; [unrolled: 1-line block ×4, first 2 shown]
	v_fma_f32 v6, v39, s2, -v6
	v_fma_f32 v8, v8, s2, -v14
	v_fmac_f32_e32 v33, 0x3eae86e6, v37
	v_fmac_f32_e32 v36, 0x3eae86e6, v38
	;; [unrolled: 1-line block ×4, first 2 shown]
	v_add_f32_e32 v3, v3, v32
	v_add_f32_e32 v12, v12, v10
	;; [unrolled: 1-line block ×6, first 2 shown]
	v_fmac_f32_e32 v47, 0xbee1c552, v15
	v_fmac_f32_e32 v33, 0xbee1c552, v15
	;; [unrolled: 1-line block ×6, first 2 shown]
	v_accvgpr_read_b32 v50, a21
	v_add_f32_e32 v14, v36, v32
	v_sub_f32_e32 v15, v10, v33
	v_sub_f32_e32 v16, v6, v72
	v_add_f32_e32 v17, v47, v8
	v_add_f32_e32 v136, v25, v112
	v_add_f32_e32 v137, v31, v113
	ds_read2_b64 v[120:123], v186 offset0:98 offset1:147
	ds_read2_b64 v[110:113], v186 offset0:196 offset1:245
	s_waitcnt lgkmcnt(0)
	; wave barrier
	s_waitcnt lgkmcnt(0)
	ds_write2_b64 v50, v[14:15], v[16:17] offset0:14 offset1:21
	v_add_f32_e32 v14, v72, v6
	v_sub_f32_e32 v15, v8, v47
	v_sub_f32_e32 v16, v32, v36
	v_add_f32_e32 v17, v33, v10
	v_accvgpr_read_b32 v6, a21
	ds_write2_b64 v6, v[14:15], v[16:17] offset0:28 offset1:35
	v_sub_f32_e32 v14, v3, v45
	v_add_f32_e32 v15, v44, v12
	v_sub_f32_e32 v0, v0, v145
	v_sub_f32_e32 v10, v130, v141
	v_add_f32_e32 v138, v45, v3
	v_sub_f32_e32 v139, v12, v44
	ds_write_b64 v6, v[14:15] offset:336
	v_sub_f32_e32 v3, v117, v143
	v_sub_f32_e32 v8, v34, v40
	;; [unrolled: 1-line block ×5, first 2 shown]
	v_add_f32_e32 v24, v10, v0
	v_sub_f32_e32 v6, v127, v144
	v_sub_f32_e32 v16, v23, v21
	v_sub_f32_e32 v21, v29, v27
	v_sub_f32_e32 v15, v27, v30
	v_sub_f32_e32 v27, v10, v0
	v_sub_f32_e32 v10, v3, v10
	v_sub_f32_e32 v0, v0, v3
	v_add_f32_e32 v3, v24, v3
	v_add_f32_e32 v24, v12, v8
	v_sub_f32_e32 v23, v30, v29
	v_sub_f32_e32 v29, v12, v8
	;; [unrolled: 1-line block ×4, first 2 shown]
	v_add_f32_e32 v6, v24, v6
	v_mov_b32_e32 v24, v136
	v_fmac_f32_e32 v24, 0xbf955555, v25
	v_mov_b32_e32 v25, v137
	v_mul_f32_e32 v14, 0x3f4a47b2, v14
	v_mul_f32_e32 v15, 0x3f4a47b2, v15
	;; [unrolled: 1-line block ×4, first 2 shown]
	v_fmac_f32_e32 v25, 0xbf955555, v31
	v_fma_f32 v30, v16, s17, -v14
	v_fmac_f32_e32 v14, 0x3d64c772, v17
	v_fma_f32 v31, v21, s17, -v15
	;; [unrolled: 2-line block ×4, first 2 shown]
	v_fmac_f32_e32 v29, 0xbeae86e6, v12
	v_add_f32_e32 v34, v14, v24
	v_add_f32_e32 v36, v15, v25
	v_fmac_f32_e32 v27, 0xbee1c552, v3
	v_fmac_f32_e32 v29, 0xbee1c552, v6
	v_add_f32_e32 v14, v29, v34
	v_sub_f32_e32 v15, v36, v27
	v_accvgpr_read_b32 v37, a103
	ds_write2_b64 v50, v[124:125], v[138:139] offset1:7
	ds_write2_b64 v37, v[136:137], v[14:15] offset1:7
	v_mul_f32_e32 v14, 0x3d64c772, v17
	v_mul_f32_e32 v15, 0x3d64c772, v23
	;; [unrolled: 1-line block ×4, first 2 shown]
	v_fma_f32 v14, v16, s2, -v14
	v_fma_f32 v15, v21, s2, -v15
	v_fmac_f32_e32 v0, 0x3eae86e6, v10
	v_fmac_f32_e32 v8, 0x3eae86e6, v12
	v_add_f32_e32 v10, v14, v24
	v_add_f32_e32 v12, v30, v24
	;; [unrolled: 1-line block ×4, first 2 shown]
	v_fmac_f32_e32 v32, 0xbee1c552, v3
	v_fmac_f32_e32 v0, 0xbee1c552, v3
	;; [unrolled: 1-line block ×4, first 2 shown]
	v_add_f32_e32 v14, v8, v12
	v_sub_f32_e32 v15, v23, v0
	v_sub_f32_e32 v16, v10, v33
	v_add_f32_e32 v17, v32, v21
	v_accvgpr_read_b32 v3, a103
	ds_write2_b64 v3, v[14:15], v[16:17] offset0:14 offset1:21
	v_add_f32_e32 v14, v33, v10
	v_sub_f32_e32 v15, v21, v32
	v_sub_f32_e32 v16, v12, v8
	v_add_f32_e32 v17, v0, v23
	ds_write2_b64 v3, v[14:15], v[16:17] offset0:28 offset1:35
	v_mul_f32_e32 v15, v183, v101
	v_fmac_f32_e32 v15, v182, v100
	v_mov_b32_e32 v25, v100
	v_mov_b32_e32 v31, v182
	;; [unrolled: 1-line block ×7, first 2 shown]
	v_pk_mul_f32 v[24:25], v[182:183], v[24:25]
	v_mov_b32_e32 v82, v99
	v_pk_fma_f32 v[16:17], v[30:31], v[16:17], v[24:25] neg_lo:[0,0,1] neg_hi:[0,0,1]
	v_pk_fma_f32 v[24:25], v[164:165], v[104:105], v[24:25]
	v_mov_b32_e32 v31, v164
	v_mov_b32_e32 v164, v181
	;; [unrolled: 1-line block ×3, first 2 shown]
	v_accvgpr_read_b32 v44, a106
	v_mov_b32_e32 v30, v180
	v_mul_f32_e32 v0, v181, v98
	v_mov_b32_e32 v72, v98
	v_mov_b32_e32 v73, v105
	v_pk_mul_f32 v[82:83], v[164:165], v[82:83]
	v_accvgpr_read_b32 v45, a107
	v_fma_f32 v32, v180, v99, -v0
	v_pk_fma_f32 v[98:99], v[30:31], v[72:73], v[82:83]
	v_pk_fma_f32 v[30:31], v[30:31], v[72:73], v[82:83] neg_lo:[0,0,1] neg_hi:[0,0,1]
	v_mul_f32_e32 v73, v45, v97
	v_fmac_f32_e32 v73, v44, v96
	v_mov_b32_e32 v83, v97
	v_mov_b32_e32 v97, v96
	;; [unrolled: 1-line block ×5, first 2 shown]
	v_accvgpr_read_b32 v47, a109
	v_mov_b32_e32 v100, v167
	v_mov_b32_e32 v82, v93
	v_pk_mul_f32 v[96:97], v[44:45], v[96:97]
	v_accvgpr_read_b32 v46, a108
	v_pk_fma_f32 v[104:105], v[100:101], v[82:83], v[96:97]
	v_pk_fma_f32 v[82:83], v[100:101], v[82:83], v[96:97] neg_lo:[0,0,1] neg_hi:[0,0,1]
	v_mov_b32_e32 v97, v166
	v_mov_b32_e32 v166, v47
	;; [unrolled: 1-line block ×4, first 2 shown]
	v_mul_f32_e32 v0, v47, v106
	v_pk_mul_f32 v[100:101], v[166:167], v[100:101]
	v_mov_b32_e32 v96, v46
	v_fma_f32 v92, v46, v107, -v0
	v_mul_f32_e32 v0, v49, v108
	v_mov_b32_e32 v107, v93
	v_fma_f32 v16, v48, v109, -v0
	v_pk_fma_f32 v[108:109], v[96:97], v[106:107], v[100:101]
	v_pk_fma_f32 v[96:97], v[96:97], v[106:107], v[100:101] neg_lo:[0,0,1] neg_hi:[0,0,1]
	v_sub_f32_e32 v100, v34, v29
	v_add_f32_e32 v101, v27, v36
	v_mov_b32_e32 v33, v98
	v_mov_b32_e32 v93, v108
	;; [unrolled: 1-line block ×11, first 2 shown]
	ds_write_b64 v3, v[100:101] offset:336
	v_add_f32_e32 v101, v32, v92
	v_pk_add_f32 v[32:33], v[32:33], v[92:93] neg_lo:[0,1] neg_hi:[0,1]
	v_add_f32_e32 v30, v15, v73
	v_pk_add_f32 v[14:15], v[14:15], v[72:73] neg_lo:[0,1] neg_hi:[0,1]
	v_mov_b32_e32 v99, v31
	v_pk_add_f32 v[92:93], v[24:25], v[104:105]
	v_pk_add_f32 v[24:25], v[82:83], v[96:97] neg_lo:[0,1] neg_hi:[0,1]
	v_pk_add_f32 v[72:73], v[98:99], v[108:109]
	v_mov_b32_e32 v82, v24
	v_mov_b32_e32 v83, v33
	;; [unrolled: 1-line block ×4, first 2 shown]
	v_pk_add_f32 v[82:83], v[82:83], v[96:97] neg_lo:[0,1] neg_hi:[0,1]
	v_mov_b32_e32 v96, v32
	v_pk_add_f32 v[98:99], v[24:25], v[14:15]
	v_mov_b32_e32 v25, v15
	v_mov_b32_e32 v31, v93
	;; [unrolled: 1-line block ×3, first 2 shown]
	v_pk_add_f32 v[24:25], v[96:97], v[24:25] neg_lo:[0,1] neg_hi:[0,1]
	v_pk_add_f32 v[96:97], v[30:31], v[100:101]
	v_sub_f32_e32 v0, v93, v101
	v_pk_add_f32 v[104:105], v[72:73], v[92:93] neg_lo:[0,1] neg_hi:[0,1]
	v_mov_b32_e32 v93, v73
	v_pk_mul_f32 v[82:83], v[82:83], s[18:19]
	v_mov_b32_e32 v100, v92
	v_pk_add_f32 v[92:93], v[92:93], v[96:97]
	v_mov_b32_e32 v31, v73
	v_pk_fma_f32 v[108:109], v[24:25], s[12:13], v[82:83]
	v_pk_add_f32 v[14:15], v[14:15], v[32:33] neg_lo:[0,1] neg_hi:[0,1]
	v_pk_mul_f32 v[24:25], v[24:25], s[12:13]
	v_pk_add_f32 v[96:97], v[100:101], v[30:31] neg_lo:[0,1] neg_hi:[0,1]
	v_pk_add_f32 v[100:101], v[92:93], v[120:121]
	v_sub_f32_e32 v3, v30, v72
	v_fma_f32 v6, v14, s6, -v82
	v_fma_f32 v8, v15, s3, -v83
	v_fma_f32 v10, v15, s6, -v25
	v_fma_f32 v12, v14, s3, -v24
	v_pk_mul_f32 v[14:15], v[104:105], s[14:15]
	v_pk_add_f32 v[98:99], v[98:99], v[32:33]
	v_pk_mul_f32 v[96:97], v[96:97], s[8:9]
	v_pk_fma_f32 v[92:93], v[92:93], s[16:17], v[100:101] op_sel_hi:[1,0,1] neg_lo:[1,0,0] neg_hi:[1,0,0]
	v_fma_f32 v15, v0, s2, -v15
	v_fma_f32 v14, v3, s17, -v14
	;; [unrolled: 1-line block ×4, first 2 shown]
	v_add_f32_e32 v17, v15, v93
	v_add_f32_e32 v21, v14, v92
	v_pk_mul_f32 v[14:15], v[98:99], s[10:11] op_sel_hi:[1,0]
	v_add_f32_e32 v3, v3, v92
	v_add_f32_e32 v0, v0, v93
	;; [unrolled: 1-line block ×6, first 2 shown]
	v_accvgpr_read_b32 v23, a105
	v_add_f32_e32 v14, v12, v21
	v_sub_f32_e32 v15, v0, v8
	v_sub_f32_e32 v24, v3, v6
	v_add_f32_e32 v25, v10, v17
	ds_write2_b64 v23, v[14:15], v[24:25] offset0:14 offset1:21
	v_add_f32_e32 v14, v6, v3
	v_sub_f32_e32 v15, v17, v10
	v_sub_f32_e32 v24, v21, v12
	v_add_f32_e32 v25, v8, v0
	v_mov_b32_e32 v119, v245
	v_mov_b32_e32 v40, v245
	v_mov_b32_e32 v21, v129
	v_mov_b32_e32 v254, v129
	v_mov_b32_e32 v253, v61
	v_mov_b32_e32 v159, v251
	ds_write2_b64 v23, v[14:15], v[24:25] offset0:28 offset1:35
	v_mov_b32_e32 v117, v252
	v_mov_b32_e32 v17, v158
	v_add_f32_e32 v15, v116, v16
	v_add_f32_e32 v24, v41, v255
	v_pk_add_f32 v[30:31], v[40:41], v[254:255] neg_lo:[0,1] neg_hi:[0,1]
	v_pk_add_f32 v[32:33], v[252:253], v[158:159]
	v_mov_b32_e32 v40, v251
	v_mov_b32_e32 v41, v20
	v_pk_add_f32 v[20:21], v[118:119], v[20:21]
	v_mov_b32_e32 v72, v61
	v_mov_b32_e32 v73, v118
	v_pk_fma_f32 v[106:107], v[104:105], s[14:15], v[96:97]
	v_pk_add_f32 v[16:17], v[116:117], v[16:17] neg_lo:[0,1] neg_hi:[0,1]
	v_pk_add_f32 v[40:41], v[40:41], v[72:73] neg_lo:[0,1] neg_hi:[0,1]
	v_mov_b32_e32 v72, v20
	v_mov_b32_e32 v73, v15
	;; [unrolled: 1-line block ×4, first 2 shown]
	v_pk_add_f32 v[106:107], v[106:107], v[92:93]
	v_pk_add_f32 v[72:73], v[72:73], v[82:83] neg_lo:[0,1] neg_hi:[0,1]
	v_mov_b32_e32 v82, v40
	v_mov_b32_e32 v83, v17
	;; [unrolled: 1-line block ×4, first 2 shown]
	v_pk_add_f32 v[82:83], v[82:83], v[92:93] neg_lo:[0,1] neg_hi:[0,1]
	v_mov_b32_e32 v92, v16
	v_pk_add_f32 v[96:97], v[40:41], v[30:31]
	v_mov_b32_e32 v41, v31
	v_mov_b32_e32 v25, v21
	v_mov_b32_e32 v14, v32
	v_pk_fma_f32 v[108:109], v[98:99], s[10:11], v[108:109] op_sel_hi:[1,0,1]
	v_pk_add_f32 v[40:41], v[92:93], v[40:41] neg_lo:[0,1] neg_hi:[0,1]
	v_pk_add_f32 v[92:93], v[32:33], v[20:21] neg_lo:[0,1] neg_hi:[0,1]
	v_mov_b32_e32 v21, v33
	v_pk_add_f32 v[32:33], v[24:25], v[14:15]
	v_pk_add_f32 v[120:121], v[106:107], v[108:109]
	v_pk_add_f32 v[106:107], v[106:107], v[108:109] neg_lo:[0,1] neg_hi:[0,1]
	v_pk_add_f32 v[20:21], v[20:21], v[32:33]
	v_mov_b32_e32 v108, v120
	v_mov_b32_e32 v109, v107
	v_pk_add_f32 v[32:33], v[20:21], v[122:123]
	v_pk_mul_f32 v[72:73], v[72:73], s[8:9]
	v_pk_mul_f32 v[82:83], v[82:83], s[18:19]
	ds_write2_b64 v23, v[100:101], v[108:109] offset1:7
	v_pk_add_f32 v[96:97], v[96:97], v[16:17]
	v_pk_fma_f32 v[20:21], v[20:21], s[16:17], v[32:33] op_sel_hi:[1,0,1] neg_lo:[1,0,0] neg_hi:[1,0,0]
	v_pk_fma_f32 v[98:99], v[92:93], s[14:15], v[72:73]
	v_pk_fma_f32 v[100:101], v[40:41], s[12:13], v[82:83]
	v_pk_add_f32 v[98:99], v[98:99], v[20:21]
	v_pk_fma_f32 v[100:101], v[96:97], s[10:11], v[100:101] op_sel_hi:[1,0,1]
	v_mov_b32_e32 v107, v121
	v_pk_add_f32 v[104:105], v[98:99], v[100:101]
	v_pk_add_f32 v[98:99], v[98:99], v[100:101] neg_lo:[0,1] neg_hi:[0,1]
	v_mov_b32_e32 v100, v104
	v_mov_b32_e32 v101, v99
	v_accvgpr_read_b32 v0, a247
	v_pk_add_f32 v[14:15], v[24:25], v[14:15] neg_lo:[0,1] neg_hi:[0,1]
	v_pk_add_f32 v[16:17], v[30:31], v[16:17] neg_lo:[0,1] neg_hi:[0,1]
	v_pk_mul_f32 v[24:25], v[92:93], s[14:15]
	v_pk_mul_f32 v[30:31], v[40:41], s[12:13]
	ds_write_b64 v23, v[106:107] offset:336
	ds_write2_b64 v0, v[32:33], v[100:101] offset1:7
	v_mov_b32_e32 v32, v24
	v_mov_b32_e32 v33, v73
	;; [unrolled: 1-line block ×6, first 2 shown]
	v_pk_fma_f32 v[32:33], v[14:15], s[2:3], v[32:33] op_sel_hi:[1,0,1] neg_lo:[1,0,1] neg_hi:[1,0,1]
	v_pk_fma_f32 v[40:41], v[16:17], s[6:7], v[40:41] op_sel_hi:[1,0,1] neg_lo:[1,0,1] neg_hi:[1,0,1]
	;; [unrolled: 1-line block ×4, first 2 shown]
	v_pk_add_f32 v[32:33], v[32:33], v[20:21]
	v_pk_fma_f32 v[40:41], v[96:97], s[10:11], v[40:41] op_sel_hi:[1,0,1]
	v_pk_add_f32 v[14:15], v[14:15], v[20:21]
	v_pk_fma_f32 v[16:17], v[96:97], s[10:11], v[16:17] op_sel_hi:[1,0,1]
	v_pk_add_f32 v[92:93], v[32:33], v[40:41]
	v_pk_add_f32 v[32:33], v[32:33], v[40:41] neg_lo:[0,1] neg_hi:[0,1]
	v_pk_add_f32 v[20:21], v[14:15], v[16:17] neg_lo:[0,1] neg_hi:[0,1]
	v_pk_add_f32 v[14:15], v[14:15], v[16:17]
	v_mov_b32_e32 v16, v92
	v_mov_b32_e32 v17, v33
	;; [unrolled: 1-line block ×7, first 2 shown]
	ds_write2_b64 v0, v[16:17], v[24:25] offset0:14 offset1:21
	ds_write2_b64 v0, v[14:15], v[32:33] offset0:28 offset1:35
	ds_write_b64 v0, v[98:99] offset:336
	scratch_load_dword v0, off, off offset:64 ; 4-byte Folded Reload
	v_mov_b32_e32 v29, v43
	v_mov_b32_e32 v177, v63
	;; [unrolled: 1-line block ×6, first 2 shown]
	v_add_f32_e32 v15, v244, v126
	v_mov_b32_e32 v114, v43
	v_mov_b32_e32 v248, v63
	v_add_f32_e32 v20, v115, v249
	v_pk_add_f32 v[30:31], v[156:157], v[160:161]
	v_mov_b32_e32 v32, v5
	v_mov_b32_e32 v33, v176
	v_pk_add_f32 v[40:41], v[28:29], v[176:177]
	v_mov_b32_e32 v72, v59
	v_mov_b32_e32 v73, v28
	v_pk_add_f32 v[16:17], v[244:245], v[126:127] neg_lo:[0,1] neg_hi:[0,1]
	v_pk_add_f32 v[24:25], v[114:115], v[248:249] neg_lo:[0,1] neg_hi:[0,1]
	;; [unrolled: 1-line block ×3, first 2 shown]
	v_mov_b32_e32 v32, v40
	v_mov_b32_e32 v33, v15
	;; [unrolled: 1-line block ×4, first 2 shown]
	v_pk_add_f32 v[32:33], v[32:33], v[72:73] neg_lo:[0,1] neg_hi:[0,1]
	v_mov_b32_e32 v72, v28
	v_mov_b32_e32 v73, v17
	;; [unrolled: 1-line block ×4, first 2 shown]
	v_pk_add_f32 v[72:73], v[72:73], v[82:83] neg_lo:[0,1] neg_hi:[0,1]
	v_mov_b32_e32 v82, v16
	v_pk_add_f32 v[92:93], v[28:29], v[24:25]
	v_mov_b32_e32 v29, v25
	v_mov_b32_e32 v21, v41
	;; [unrolled: 1-line block ×3, first 2 shown]
	v_pk_add_f32 v[28:29], v[82:83], v[28:29] neg_lo:[0,1] neg_hi:[0,1]
	v_pk_add_f32 v[82:83], v[30:31], v[40:41] neg_lo:[0,1] neg_hi:[0,1]
	v_mov_b32_e32 v41, v31
	v_pk_add_f32 v[30:31], v[20:21], v[14:15]
	v_pk_mul_f32 v[32:33], v[32:33], s[8:9]
	v_pk_add_f32 v[30:31], v[40:41], v[30:31]
	v_pk_add_f32 v[40:41], v[92:93], v[16:17]
	v_pk_mul_f32 v[72:73], v[72:73], s[18:19]
	v_pk_add_f32 v[92:93], v[30:31], v[110:111]
	v_pk_fma_f32 v[96:97], v[82:83], s[14:15], v[32:33]
	v_pk_fma_f32 v[30:31], v[30:31], s[16:17], v[92:93] op_sel_hi:[1,0,1] neg_lo:[1,0,0] neg_hi:[1,0,0]
	v_pk_fma_f32 v[98:99], v[28:29], s[12:13], v[72:73]
	v_pk_add_f32 v[14:15], v[20:21], v[14:15] neg_lo:[0,1] neg_hi:[0,1]
	v_pk_add_f32 v[16:17], v[24:25], v[16:17] neg_lo:[0,1] neg_hi:[0,1]
	v_pk_mul_f32 v[20:21], v[82:83], s[14:15]
	v_pk_mul_f32 v[24:25], v[28:29], s[12:13]
	v_pk_add_f32 v[96:97], v[96:97], v[30:31]
	v_pk_fma_f32 v[98:99], v[40:41], s[10:11], v[98:99] op_sel_hi:[1,0,1]
	v_mov_b32_e32 v28, v20
	v_mov_b32_e32 v29, v33
	;; [unrolled: 1-line block ×6, first 2 shown]
	v_pk_add_f32 v[100:101], v[96:97], v[98:99]
	v_pk_add_f32 v[96:97], v[96:97], v[98:99] neg_lo:[0,1] neg_hi:[0,1]
	v_pk_fma_f32 v[28:29], v[14:15], s[2:3], v[28:29] op_sel_hi:[1,0,1] neg_lo:[1,0,1] neg_hi:[1,0,1]
	v_pk_fma_f32 v[82:83], v[16:17], s[6:7], v[82:83] op_sel_hi:[1,0,1] neg_lo:[1,0,1] neg_hi:[1,0,1]
	;; [unrolled: 1-line block ×4, first 2 shown]
	v_mov_b32_e32 v98, v100
	v_mov_b32_e32 v99, v97
	v_pk_add_f32 v[28:29], v[28:29], v[30:31]
	v_pk_fma_f32 v[82:83], v[40:41], s[10:11], v[82:83] op_sel_hi:[1,0,1]
	v_pk_add_f32 v[14:15], v[14:15], v[30:31]
	v_pk_fma_f32 v[16:17], v[40:41], s[10:11], v[16:17] op_sel_hi:[1,0,1]
	v_mov_b32_e32 v97, v101
	v_pk_add_f32 v[20:21], v[14:15], v[16:17] neg_lo:[0,1] neg_hi:[0,1]
	v_pk_add_f32 v[14:15], v[14:15], v[16:17]
	v_mov_b32_e32 v24, v20
	v_mov_b32_e32 v25, v15
	;; [unrolled: 1-line block ×6, first 2 shown]
	s_waitcnt vmcnt(0)
	ds_write2_b64 v0, v[92:93], v[98:99] offset1:7
	v_pk_add_f32 v[92:93], v[28:29], v[82:83]
	v_pk_add_f32 v[28:29], v[28:29], v[82:83] neg_lo:[0,1] neg_hi:[0,1]
	v_mov_b32_e32 v16, v92
	v_mov_b32_e32 v17, v29
	;; [unrolled: 1-line block ×3, first 2 shown]
	ds_write2_b64 v0, v[16:17], v[24:25] offset0:14 offset1:21
	ds_write2_b64 v0, v[14:15], v[28:29] offset0:28 offset1:35
	ds_write_b64 v0, v[96:97] offset:336
	scratch_load_dword v0, off, off offset:24 ; 4-byte Folded Reload
	v_mov_b32_e32 v189, v11
	v_mov_b32_e32 v129, v22
	;; [unrolled: 1-line block ×3, first 2 shown]
	v_add_f32_e32 v15, v128, v4
	v_mov_b32_e32 v130, v7
	v_mov_b32_e32 v178, v51
	v_add_f32_e32 v6, v131, v179
	v_pk_add_f32 v[20:21], v[22:23], v[188:189]
	v_mov_b32_e32 v10, v11
	v_mov_b32_e32 v11, v94
	v_pk_add_f32 v[22:23], v[162:163], v[94:95]
	v_mov_b32_e32 v24, v19
	v_mov_b32_e32 v25, v162
	v_pk_add_f32 v[4:5], v[128:129], v[4:5] neg_lo:[0,1] neg_hi:[0,1]
	v_pk_add_f32 v[16:17], v[130:131], v[178:179] neg_lo:[0,1] neg_hi:[0,1]
	;; [unrolled: 1-line block ×3, first 2 shown]
	v_mov_b32_e32 v24, v22
	v_mov_b32_e32 v25, v15
	;; [unrolled: 1-line block ×4, first 2 shown]
	v_pk_add_f32 v[24:25], v[24:25], v[28:29] neg_lo:[0,1] neg_hi:[0,1]
	v_mov_b32_e32 v28, v10
	v_mov_b32_e32 v29, v5
	;; [unrolled: 1-line block ×4, first 2 shown]
	v_pk_add_f32 v[28:29], v[28:29], v[30:31] neg_lo:[0,1] neg_hi:[0,1]
	v_mov_b32_e32 v30, v4
	v_pk_add_f32 v[32:33], v[10:11], v[16:17]
	v_mov_b32_e32 v11, v17
	v_mov_b32_e32 v7, v23
	;; [unrolled: 1-line block ×3, first 2 shown]
	v_pk_add_f32 v[10:11], v[30:31], v[10:11] neg_lo:[0,1] neg_hi:[0,1]
	v_pk_add_f32 v[30:31], v[20:21], v[22:23] neg_lo:[0,1] neg_hi:[0,1]
	v_mov_b32_e32 v23, v21
	v_pk_add_f32 v[20:21], v[6:7], v[14:15]
	v_pk_mul_f32 v[24:25], v[24:25], s[8:9]
	v_pk_add_f32 v[20:21], v[22:23], v[20:21]
	v_pk_mul_f32 v[28:29], v[28:29], s[18:19]
	v_pk_add_f32 v[22:23], v[20:21], v[112:113]
	v_pk_add_f32 v[32:33], v[32:33], v[4:5]
	v_pk_fma_f32 v[20:21], v[20:21], s[16:17], v[22:23] op_sel_hi:[1,0,1] neg_lo:[1,0,0] neg_hi:[1,0,0]
	v_pk_fma_f32 v[40:41], v[30:31], s[14:15], v[24:25]
	v_pk_fma_f32 v[72:73], v[10:11], s[12:13], v[28:29]
	v_pk_add_f32 v[40:41], v[40:41], v[20:21]
	v_pk_fma_f32 v[72:73], v[32:33], s[10:11], v[72:73] op_sel_hi:[1,0,1]
	v_pk_add_f32 v[6:7], v[6:7], v[14:15] neg_lo:[0,1] neg_hi:[0,1]
	v_pk_add_f32 v[82:83], v[40:41], v[72:73] neg_lo:[0,1] neg_hi:[0,1]
	v_pk_add_f32 v[40:41], v[40:41], v[72:73]
	v_mov_b32_e32 v73, v83
	v_mov_b32_e32 v72, v40
	v_pk_mul_f32 v[14:15], v[30:31], s[14:15]
	v_pk_mul_f32 v[10:11], v[10:11], s[12:13]
	v_pk_add_f32 v[4:5], v[16:17], v[4:5] neg_lo:[0,1] neg_hi:[0,1]
	v_mov_b32_e32 v16, v14
	v_mov_b32_e32 v17, v25
	;; [unrolled: 1-line block ×3, first 2 shown]
	v_pk_fma_f32 v[16:17], v[6:7], s[2:3], v[16:17] op_sel_hi:[1,0,1] neg_lo:[1,0,1] neg_hi:[1,0,1]
	v_pk_fma_f32 v[6:7], v[6:7], s[2:3], v[24:25] op_sel_hi:[1,0,1] neg_lo:[0,0,1] neg_hi:[0,0,1]
	v_pk_add_f32 v[16:17], v[16:17], v[20:21]
	v_pk_add_f32 v[6:7], v[6:7], v[20:21]
	v_mul_f32_e32 v35, v193, v215
	v_fmac_f32_e32 v35, v192, v214
	v_mov_b32_e32 v83, v41
	v_mov_b32_e32 v3, v175
	;; [unrolled: 1-line block ×8, first 2 shown]
	v_add_f32_e32 v8, v1, v35
	v_mov_b32_e32 v12, v13
	v_mov_b32_e32 v13, v102
	v_accvgpr_read_b32 v48, a252
	v_accvgpr_read_b32 v49, a253
	;; [unrolled: 1-line block ×4, first 2 shown]
	v_mov_b32_e32 v116, v75
	v_mov_b32_e32 v117, v85
	s_waitcnt vmcnt(0)
	ds_write2_b64 v0, v[22:23], v[72:73] offset1:7
	v_mov_b32_e32 v22, v10
	v_mov_b32_e32 v23, v29
	;; [unrolled: 1-line block ×3, first 2 shown]
	v_pk_fma_f32 v[22:23], v[4:5], s[6:7], v[22:23] op_sel_hi:[1,0,1] neg_lo:[1,0,1] neg_hi:[1,0,1]
	v_pk_fma_f32 v[4:5], v[4:5], s[6:7], v[28:29] op_sel_hi:[1,0,1] neg_lo:[0,0,1] neg_hi:[0,0,1]
	v_pk_fma_f32 v[22:23], v[32:33], s[10:11], v[22:23] op_sel_hi:[1,0,1]
	v_pk_fma_f32 v[4:5], v[32:33], s[10:11], v[4:5] op_sel_hi:[1,0,1]
	v_pk_add_f32 v[30:31], v[16:17], v[22:23] neg_lo:[0,1] neg_hi:[0,1]
	v_pk_add_f32 v[16:17], v[16:17], v[22:23]
	v_pk_add_f32 v[10:11], v[6:7], v[4:5]
	v_pk_add_f32 v[4:5], v[6:7], v[4:5] neg_lo:[0,1] neg_hi:[0,1]
	v_mov_b32_e32 v6, v16
	v_mov_b32_e32 v7, v31
	;; [unrolled: 1-line block ×6, first 2 shown]
	ds_write2_b64 v0, v[6:7], v[14:15] offset0:14 offset1:21
	ds_write2_b64 v0, v[10:11], v[30:31] offset0:28 offset1:35
	ds_write_b64 v0, v[82:83] offset:336
	v_add_f32_e32 v5, v18, v42
	v_mov_b32_e32 v0, v175
	v_pk_add_f32 v[10:11], v[26:27], v[172:173]
	v_pk_add_f32 v[14:15], v[2:3], v[102:103]
	v_mov_b32_e32 v16, v9
	v_mov_b32_e32 v17, v2
	v_pk_add_f32 v[6:7], v[18:19], v[42:43] neg_lo:[0,1] neg_hi:[0,1]
	v_pk_add_f32 v[0:1], v[0:1], v[34:35] neg_lo:[0,1] neg_hi:[0,1]
	;; [unrolled: 1-line block ×3, first 2 shown]
	v_mov_b32_e32 v12, v14
	v_mov_b32_e32 v13, v5
	;; [unrolled: 1-line block ×4, first 2 shown]
	v_pk_add_f32 v[12:13], v[12:13], v[16:17] neg_lo:[0,1] neg_hi:[0,1]
	v_mov_b32_e32 v16, v2
	v_mov_b32_e32 v17, v7
	;; [unrolled: 1-line block ×4, first 2 shown]
	v_pk_add_f32 v[16:17], v[16:17], v[18:19] neg_lo:[0,1] neg_hi:[0,1]
	v_mov_b32_e32 v18, v6
	v_pk_add_f32 v[20:21], v[2:3], v[0:1]
	v_mov_b32_e32 v3, v1
	v_mov_b32_e32 v9, v15
	;; [unrolled: 1-line block ×3, first 2 shown]
	v_pk_add_f32 v[2:3], v[18:19], v[2:3] neg_lo:[0,1] neg_hi:[0,1]
	v_pk_add_f32 v[18:19], v[10:11], v[14:15] neg_lo:[0,1] neg_hi:[0,1]
	v_mov_b32_e32 v15, v11
	v_pk_add_f32 v[10:11], v[8:9], v[4:5]
	v_pk_mul_f32 v[12:13], v[12:13], s[8:9]
	v_pk_add_f32 v[10:11], v[14:15], v[10:11]
	v_pk_mul_f32 v[16:17], v[16:17], s[18:19]
	v_pk_add_f32 v[14:15], v[10:11], v[240:241]
	v_pk_add_f32 v[20:21], v[20:21], v[6:7]
	v_pk_fma_f32 v[10:11], v[10:11], s[16:17], v[14:15] op_sel_hi:[1,0,1] neg_lo:[1,0,0] neg_hi:[1,0,0]
	v_pk_fma_f32 v[22:23], v[18:19], s[14:15], v[12:13]
	v_pk_fma_f32 v[24:25], v[2:3], s[12:13], v[16:17]
	v_pk_add_f32 v[22:23], v[22:23], v[10:11]
	v_pk_fma_f32 v[24:25], v[20:21], s[10:11], v[24:25] op_sel_hi:[1,0,1]
	v_pk_add_f32 v[0:1], v[0:1], v[6:7] neg_lo:[0,1] neg_hi:[0,1]
	v_pk_add_f32 v[26:27], v[22:23], v[24:25] neg_lo:[0,1] neg_hi:[0,1]
	v_pk_add_f32 v[22:23], v[22:23], v[24:25]
	v_mov_b32_e32 v25, v27
	v_mov_b32_e32 v24, v22
	v_accvgpr_read_b32 v22, a23
	v_pk_mul_f32 v[6:7], v[18:19], s[14:15]
	v_pk_mul_f32 v[2:3], v[2:3], s[12:13]
	ds_write2_b64 v22, v[14:15], v[24:25] offset1:7
	v_pk_add_f32 v[4:5], v[8:9], v[4:5] neg_lo:[0,1] neg_hi:[0,1]
	v_mov_b32_e32 v8, v6
	v_mov_b32_e32 v9, v13
	;; [unrolled: 1-line block ×6, first 2 shown]
	v_pk_fma_f32 v[8:9], v[4:5], s[2:3], v[8:9] op_sel_hi:[1,0,1] neg_lo:[1,0,1] neg_hi:[1,0,1]
	v_pk_fma_f32 v[14:15], v[0:1], s[6:7], v[14:15] op_sel_hi:[1,0,1] neg_lo:[1,0,1] neg_hi:[1,0,1]
	;; [unrolled: 1-line block ×4, first 2 shown]
	v_pk_add_f32 v[8:9], v[8:9], v[10:11]
	v_pk_fma_f32 v[14:15], v[20:21], s[10:11], v[14:15] op_sel_hi:[1,0,1]
	v_pk_add_f32 v[2:3], v[4:5], v[10:11]
	v_pk_fma_f32 v[0:1], v[20:21], s[10:11], v[0:1] op_sel_hi:[1,0,1]
	v_pk_add_f32 v[18:19], v[8:9], v[14:15] neg_lo:[0,1] neg_hi:[0,1]
	v_pk_add_f32 v[8:9], v[8:9], v[14:15]
	v_pk_add_f32 v[4:5], v[2:3], v[0:1]
	v_pk_add_f32 v[0:1], v[2:3], v[0:1] neg_lo:[0,1] neg_hi:[0,1]
	v_mov_b32_e32 v2, v8
	v_mov_b32_e32 v3, v19
	;; [unrolled: 1-line block ×4, first 2 shown]
	v_accvgpr_read_b32 v0, a23
	v_mov_b32_e32 v5, v1
	v_mov_b32_e32 v19, v9
	;; [unrolled: 1-line block ×3, first 2 shown]
	ds_write2_b64 v0, v[2:3], v[6:7] offset0:14 offset1:21
	ds_write2_b64 v0, v[4:5], v[18:19] offset0:28 offset1:35
	ds_write_b64 v0, v[26:27] offset:336
	s_waitcnt lgkmcnt(0)
	; wave barrier
	s_waitcnt lgkmcnt(0)
	ds_read2_b64 v[10:13], v216 offset0:16 offset1:65
	ds_read2_b64 v[176:179], v217 offset0:54 offset1:103
	v_accvgpr_read_b32 v6, a146
	v_accvgpr_read_b32 v9, a149
	;; [unrolled: 1-line block ×3, first 2 shown]
	s_waitcnt lgkmcnt(1)
	v_mul_f32_e32 v19, v9, v11
	v_fmac_f32_e32 v19, v8, v10
	v_mov_b32_e32 v1, v8
	v_mov_b32_e32 v8, v197
	s_waitcnt lgkmcnt(0)
	v_mov_b32_e32 v4, v179
	v_mov_b32_e32 v5, v10
	;; [unrolled: 1-line block ×5, first 2 shown]
	v_pk_mul_f32 v[4:5], v[8:9], v[4:5]
	ds_read2_b64 v[182:185], v225 offset0:136 offset1:185
	v_pk_fma_f32 v[22:23], v[0:1], v[2:3], v[4:5] neg_lo:[0,0,1] neg_hi:[0,0,1]
	v_pk_fma_f32 v[20:21], v[196:197], v[178:179], v[4:5]
	v_mov_b32_e32 v3, v179
	v_mov_b32_e32 v5, v178
	ds_read2_b64 v[98:101], v57 offset0:190 offset1:239
	ds_read2_b64 v[178:181], v56 offset0:100 offset1:149
	v_accvgpr_read_b32 v7, a147
	ds_read2_b64 v[106:109], v187 offset0:108 offset1:157
	v_mov_b32_e32 v1, v196
	v_mov_b32_e32 v196, v7
	s_waitcnt lgkmcnt(3)
	v_mov_b32_e32 v4, v185
	v_mov_b32_e32 v0, v6
	;; [unrolled: 1-line block ×3, first 2 shown]
	v_pk_mul_f32 v[4:5], v[196:197], v[4:5]
	s_waitcnt lgkmcnt(1)
	v_mul_f32_e32 v29, v49, v181
	v_pk_fma_f32 v[26:27], v[0:1], v[2:3], v[4:5]
	v_pk_fma_f32 v[24:25], v[0:1], v[2:3], v[4:5] neg_lo:[0,0,1] neg_hi:[0,0,1]
	v_mov_b32_e32 v1, v48
	v_fmac_f32_e32 v29, v48, v180
	v_mov_b32_e32 v48, v198
	v_mov_b32_e32 v4, v98
	;; [unrolled: 1-line block ×6, first 2 shown]
	v_pk_mul_f32 v[4:5], v[48:49], v[4:5]
	ds_read2_b64 v[8:11], v218 offset0:84 offset1:133
	v_pk_fma_f32 v[34:35], v[0:1], v[2:3], v[4:5]
	v_pk_fma_f32 v[124:125], v[0:1], v[2:3], v[4:5] neg_lo:[0,0,1] neg_hi:[0,0,1]
	v_mov_b32_e32 v1, v198
	v_mov_b32_e32 v198, v51
	s_waitcnt lgkmcnt(1)
	v_mov_b32_e32 v2, v107
	v_mov_b32_e32 v3, v98
	v_pk_mul_f32 v[2:3], v[198:199], v[2:3]
	v_mov_b32_e32 v0, v50
	v_mov_b32_e32 v4, v106
	;; [unrolled: 1-line block ×3, first 2 shown]
	v_pk_fma_f32 v[40:41], v[0:1], v[4:5], v[2:3]
	v_pk_fma_f32 v[126:127], v[0:1], v[4:5], v[2:3] neg_lo:[0,0,1] neg_hi:[0,0,1]
	ds_read2_b64 v[0:3], v225 offset0:38 offset1:87
	v_mov_b64_e32 v[44:45], v[6:7]
	s_waitcnt lgkmcnt(1)
	v_mov_b32_e32 v7, v10
	v_mov_b32_e32 v5, v11
	ds_read2_b64 v[112:115], v57 offset0:92 offset1:141
	s_waitcnt lgkmcnt(1)
	v_mov_b32_e32 v6, v3
	v_mov_b32_e32 v4, v2
	v_pk_mul_f32 v[6:7], v[116:117], v[6:7]
	ds_read2_b64 v[188:191], v187 offset0:10 offset1:59
	v_pk_fma_f32 v[94:95], v[66:67], v[4:5], v[6:7]
	v_pk_fma_f32 v[92:93], v[66:67], v[4:5], v[6:7] neg_lo:[0,0,1] neg_hi:[0,0,1]
	ds_read2_b64 v[4:7], v201 offset0:130 offset1:179
	v_accvgpr_read_b32 v46, a228
	v_mov_b32_e32 v118, v86
	v_accvgpr_read_b32 v119, a229
	v_accvgpr_read_b32 v49, a231
	s_waitcnt lgkmcnt(2)
	v_mov_b32_e32 v16, v112
	s_waitcnt lgkmcnt(0)
	v_mov_b32_e32 v17, v6
	ds_read2_b64 v[194:197], v52 offset0:174 offset1:223
	v_mov_b32_e32 v72, v87
	v_accvgpr_read_b32 v73, a228
	v_accvgpr_read_b32 v48, a230
	v_mov_b32_e32 v14, v113
	v_mov_b32_e32 v15, v7
	v_pk_mul_f32 v[16:17], v[118:119], v[16:17]
	v_mov_b32_e32 v43, v86
	v_mov_b32_e32 v32, v189
	v_mov_b32_e32 v33, v112
	v_mov_b32_e32 v86, v49
	v_pk_fma_f32 v[30:31], v[72:73], v[14:15], v[16:17]
	v_pk_fma_f32 v[14:15], v[72:73], v[14:15], v[16:17] neg_lo:[0,0,1] neg_hi:[0,0,1]
	v_mov_b32_e32 v42, v48
	v_mov_b32_e32 v16, v188
	;; [unrolled: 1-line block ×3, first 2 shown]
	v_pk_mul_f32 v[32:33], v[86:87], v[32:33]
	v_mul_f32_e32 v2, v75, v2
	v_pk_fma_f32 v[82:83], v[42:43], v[16:17], v[32:33]
	v_mul_f32_e32 v14, v49, v188
	v_pk_fma_f32 v[16:17], v[42:43], v[16:17], v[32:33] neg_lo:[0,0,1] neg_hi:[0,0,1]
	v_fma_f32 v2, v74, v3, -v2
	v_mov_b32_e32 v3, v94
	v_fma_f32 v32, v48, v189, -v14
	v_mov_b32_e32 v33, v82
	v_add_f32_e32 v143, v2, v32
	v_pk_add_f32 v[140:141], v[2:3], v[32:33] neg_lo:[0,1] neg_hi:[0,1]
	v_mov_b32_e32 v138, v85
	v_mov_b32_e32 v139, v77
	;; [unrolled: 1-line block ×3, first 2 shown]
	s_waitcnt lgkmcnt(0)
	v_mov_b32_e32 v33, v194
	v_mov_b32_e32 v136, v84
	;; [unrolled: 1-line block ×5, first 2 shown]
	v_pk_mul_f32 v[32:33], v[138:139], v[32:33]
	v_accvgpr_read_b32 v47, a229
	v_pk_fma_f32 v[2:3], v[136:137], v[2:3], v[32:33] neg_lo:[0,0,1] neg_hi:[0,0,1]
	v_pk_fma_f32 v[10:11], v[84:85], v[10:11], v[32:33]
	v_mov_b32_e32 v2, v3
	v_mov_b32_e32 v11, v3
	v_mul_f32_e32 v3, v77, v195
	v_mov_b32_e32 v31, v15
	v_mov_b32_e32 v14, v15
	v_mul_f32_e32 v15, v47, v7
	v_fmac_f32_e32 v3, v76, v194
	v_fmac_f32_e32 v15, v46, v6
	v_mov_b32_e32 v95, v93
	v_mov_b32_e32 v83, v17
	ds_read2_b64 v[192:195], v186 offset1:49
	v_add_f32_e32 v144, v3, v15
	v_pk_add_f32 v[146:147], v[2:3], v[14:15] neg_lo:[0,1] neg_hi:[0,1]
	v_pk_add_f32 v[2:3], v[94:95], v[82:83]
	v_mov_b32_e32 v6, v17
	v_mov_b32_e32 v7, v30
	v_pk_add_f32 v[14:15], v[10:11], v[30:31]
	v_mov_b32_e32 v16, v93
	v_mov_b32_e32 v17, v10
	v_pk_add_f32 v[6:7], v[6:7], v[16:17] neg_lo:[0,1] neg_hi:[0,1]
	v_mov_b32_e32 v10, v14
	v_mov_b32_e32 v11, v143
	;; [unrolled: 1-line block ×6, first 2 shown]
	v_pk_add_f32 v[10:11], v[10:11], v[16:17] neg_lo:[0,1] neg_hi:[0,1]
	v_mov_b32_e32 v16, v6
	v_mov_b32_e32 v17, v141
	v_mov_b32_e32 v30, v146
	v_mov_b32_e32 v31, v7
	v_pk_add_f32 v[198:199], v[2:3], v[14:15] neg_lo:[0,1] neg_hi:[0,1]
	v_mov_b32_e32 v15, v3
	v_pk_add_f32 v[2:3], v[144:145], v[142:143]
	v_pk_add_f32 v[16:17], v[16:17], v[30:31] neg_lo:[0,1] neg_hi:[0,1]
	v_mov_b32_e32 v30, v140
	v_pk_add_f32 v[32:33], v[6:7], v[146:147]
	v_mov_b32_e32 v7, v147
	v_pk_add_f32 v[2:3], v[14:15], v[2:3]
	v_pk_add_f32 v[180:181], v[30:31], v[6:7] neg_lo:[0,1] neg_hi:[0,1]
	v_pk_mul_f32 v[152:153], v[10:11], s[8:9]
	v_pk_mul_f32 v[150:151], v[16:17], s[18:19]
	s_waitcnt lgkmcnt(0)
	v_pk_add_f32 v[192:193], v[2:3], v[192:193]
	v_pk_add_f32 v[148:149], v[32:33], v[140:141]
	v_pk_fma_f32 v[154:155], v[2:3], s[16:17], v[192:193] op_sel_hi:[1,0,1] neg_lo:[1,0,0] neg_hi:[1,0,0]
	v_pk_fma_f32 v[2:3], v[198:199], s[14:15], v[152:153]
	v_pk_fma_f32 v[6:7], v[180:181], s[12:13], v[150:151]
	v_pk_add_f32 v[2:3], v[2:3], v[154:155]
	v_pk_fma_f32 v[6:7], v[148:149], s[10:11], v[6:7] op_sel_hi:[1,0,1]
	v_accvgpr_read_b32 v200, a5
	v_pk_add_f32 v[10:11], v[2:3], v[6:7]
	v_pk_add_f32 v[6:7], v[2:3], v[6:7] neg_lo:[0,1] neg_hi:[0,1]
	v_accvgpr_read_b32 v188, a4
	v_mov_b32_e32 v14, v10
	v_mov_b32_e32 v15, v7
	v_pk_mul_f32 v[30:31], v[198:199], s[14:15]
	v_pk_mul_f32 v[32:33], v[180:181], s[12:13]
	ds_read2_b64 v[120:123], v201 offset0:32 offset1:81
	ds_read_b64 v[2:3], v186 offset:18816
	ds_read2_b64 v[36:39], v186 offset0:98 offset1:147
	ds_read2_b64 v[164:167], v55 offset0:106 offset1:155
	;; [unrolled: 1-line block ×10, first 2 shown]
	s_waitcnt lgkmcnt(0)
	; wave barrier
	s_waitcnt lgkmcnt(0)
	ds_write2_b64 v186, v[192:193], v[14:15] offset1:49
	v_pk_add_f32 v[14:15], v[144:145], v[142:143] neg_lo:[0,1] neg_hi:[0,1]
	v_pk_add_f32 v[16:17], v[146:147], v[140:141] neg_lo:[0,1] neg_hi:[0,1]
	v_mov_b32_e32 v82, v30
	v_mov_b32_e32 v83, v153
	;; [unrolled: 1-line block ×6, first 2 shown]
	v_pk_fma_f32 v[82:83], v[14:15], s[2:3], v[82:83] op_sel_hi:[1,0,1] neg_lo:[1,0,1] neg_hi:[1,0,1]
	v_pk_fma_f32 v[140:141], v[16:17], s[6:7], v[140:141] op_sel_hi:[1,0,1] neg_lo:[1,0,1] neg_hi:[1,0,1]
	;; [unrolled: 1-line block ×4, first 2 shown]
	v_mov_b32_e32 v62, v183
	v_mov_b32_e32 v63, v176
	v_pk_add_f32 v[82:83], v[82:83], v[154:155]
	v_pk_fma_f32 v[140:141], v[148:149], s[10:11], v[140:141] op_sel_hi:[1,0,1]
	v_pk_add_f32 v[14:15], v[14:15], v[154:155]
	v_pk_fma_f32 v[16:17], v[148:149], s[10:11], v[16:17] op_sel_hi:[1,0,1]
	v_mov_b32_e32 v60, v182
	v_mov_b32_e32 v61, v177
	v_pk_mul_f32 v[62:63], v[116:117], v[62:63]
	v_pk_add_f32 v[142:143], v[82:83], v[140:141]
	v_pk_add_f32 v[82:83], v[82:83], v[140:141] neg_lo:[0,1] neg_hi:[0,1]
	v_pk_add_f32 v[30:31], v[14:15], v[16:17] neg_lo:[0,1] neg_hi:[0,1]
	v_pk_add_f32 v[14:15], v[14:15], v[16:17]
	v_mul_f32_e32 v7, v75, v182
	v_pk_fma_f32 v[64:65], v[66:67], v[60:61], v[62:63]
	v_pk_fma_f32 v[60:61], v[66:67], v[60:61], v[62:63] neg_lo:[0,0,1] neg_hi:[0,0,1]
	v_mov_b32_e32 v67, v178
	v_mov_b32_e32 v66, v114
	;; [unrolled: 1-line block ×8, first 2 shown]
	v_fma_f32 v10, v74, v183, -v7
	v_mul_f32_e32 v7, v45, v184
	v_mov_b32_e32 v63, v179
	v_pk_mul_f32 v[66:67], v[118:119], v[66:67]
	v_mov_b32_e32 v62, v115
	ds_write2_b64 v186, v[16:17], v[32:33] offset0:98 offset1:147
	ds_write2_b64 v186, v[14:15], v[82:83] offset0:196 offset1:245
	v_fma_f32 v16, v44, v185, -v7
	v_mov_b32_e32 v33, v196
	v_mov_b32_e32 v32, v177
	v_accvgpr_read_b32 v44, a228
	v_pk_fma_f32 v[82:83], v[72:73], v[62:63], v[66:67]
	v_pk_fma_f32 v[62:63], v[72:73], v[62:63], v[66:67] neg_lo:[0,0,1] neg_hi:[0,0,1]
	v_mov_b32_e32 v66, v191
	v_mov_b32_e32 v67, v114
	v_mov_b32_e32 v31, v197
	v_pk_mul_f32 v[32:33], v[138:139], v[32:33]
	v_mov_b32_e32 v30, v176
	v_accvgpr_read_b32 v45, a229
	v_accvgpr_read_b32 v47, a231
	v_pk_mul_f32 v[66:67], v[86:87], v[66:67]
	v_mov_b32_e32 v72, v190
	v_mov_b32_e32 v73, v115
	v_mul_f32_e32 v15, v77, v197
	v_pk_fma_f32 v[30:31], v[136:137], v[30:31], v[32:33] neg_lo:[0,0,1] neg_hi:[0,0,1]
	v_pk_fma_f32 v[32:33], v[84:85], v[176:177], v[32:33]
	v_accvgpr_read_b32 v46, a230
	v_mul_f32_e32 v53, v45, v179
	v_mul_f32_e32 v7, v47, v190
	v_pk_fma_f32 v[84:85], v[42:43], v[72:73], v[66:67]
	v_pk_fma_f32 v[42:43], v[42:43], v[72:73], v[66:67] neg_lo:[0,0,1] neg_hi:[0,0,1]
	v_mov_b32_e32 v18, v55
	v_fmac_f32_e32 v15, v76, v196
	v_fmac_f32_e32 v53, v44, v178
	v_fma_f32 v54, v46, v191, -v7
	v_mov_b32_e32 v7, v11
	v_mov_b32_e32 v11, v64
	;; [unrolled: 1-line block ×9, first 2 shown]
	v_add_f32_e32 v67, v10, v54
	v_pk_add_f32 v[10:11], v[10:11], v[54:55] neg_lo:[0,1] neg_hi:[0,1]
	v_add_f32_e32 v30, v15, v53
	v_pk_add_f32 v[14:15], v[14:15], v[52:53] neg_lo:[0,1] neg_hi:[0,1]
	v_pk_add_f32 v[52:53], v[64:65], v[84:85]
	v_mov_b32_e32 v42, v43
	v_mov_b32_e32 v43, v82
	v_pk_add_f32 v[54:55], v[32:33], v[82:83]
	v_mov_b32_e32 v60, v61
	v_mov_b32_e32 v61, v32
	v_pk_add_f32 v[32:33], v[42:43], v[60:61] neg_lo:[0,1] neg_hi:[0,1]
	v_mov_b32_e32 v42, v54
	v_mov_b32_e32 v43, v67
	;; [unrolled: 1-line block ×4, first 2 shown]
	v_pk_add_f32 v[42:43], v[42:43], v[60:61] neg_lo:[0,1] neg_hi:[0,1]
	v_mov_b32_e32 v60, v32
	v_mov_b32_e32 v61, v11
	;; [unrolled: 1-line block ×4, first 2 shown]
	v_pk_add_f32 v[60:61], v[60:61], v[62:63] neg_lo:[0,1] neg_hi:[0,1]
	v_mov_b32_e32 v62, v10
	v_pk_add_f32 v[64:65], v[32:33], v[14:15]
	v_mov_b32_e32 v33, v15
	v_mov_b32_e32 v31, v55
	;; [unrolled: 1-line block ×3, first 2 shown]
	v_pk_add_f32 v[32:33], v[62:63], v[32:33] neg_lo:[0,1] neg_hi:[0,1]
	v_pk_add_f32 v[62:63], v[52:53], v[54:55] neg_lo:[0,1] neg_hi:[0,1]
	v_mov_b32_e32 v55, v53
	v_pk_add_f32 v[52:53], v[30:31], v[66:67]
	v_pk_mul_f32 v[42:43], v[42:43], s[8:9]
	v_pk_add_f32 v[52:53], v[54:55], v[52:53]
	v_pk_add_f32 v[30:31], v[30:31], v[66:67] neg_lo:[0,1] neg_hi:[0,1]
	v_pk_add_f32 v[54:55], v[52:53], v[194:195]
	ds_write2_b64 v225, v[6:7], v[54:55] offset0:38 offset1:87
	v_pk_fma_f32 v[6:7], v[52:53], s[16:17], v[54:55] op_sel_hi:[1,0,1] neg_lo:[1,0,0] neg_hi:[1,0,0]
	v_pk_mul_f32 v[54:55], v[60:61], s[18:19]
	v_pk_add_f32 v[52:53], v[64:65], v[10:11]
	v_pk_fma_f32 v[60:61], v[62:63], s[14:15], v[42:43]
	v_pk_fma_f32 v[64:65], v[32:33], s[12:13], v[54:55]
	v_pk_add_f32 v[60:61], v[60:61], v[6:7]
	v_pk_fma_f32 v[64:65], v[52:53], s[10:11], v[64:65] op_sel_hi:[1,0,1]
	v_pk_add_f32 v[10:11], v[14:15], v[10:11] neg_lo:[0,1] neg_hi:[0,1]
	v_pk_mul_f32 v[14:15], v[62:63], s[14:15]
	v_pk_mul_f32 v[32:33], v[32:33], s[12:13]
	v_pk_add_f32 v[72:73], v[60:61], v[64:65] neg_lo:[0,1] neg_hi:[0,1]
	v_pk_add_f32 v[60:61], v[60:61], v[64:65]
	v_mov_b32_e32 v62, v14
	v_mov_b32_e32 v63, v43
	;; [unrolled: 1-line block ×6, first 2 shown]
	v_pk_fma_f32 v[62:63], v[30:31], s[2:3], v[62:63] op_sel_hi:[1,0,1] neg_lo:[1,0,1] neg_hi:[1,0,1]
	v_pk_fma_f32 v[64:65], v[10:11], s[6:7], v[64:65] op_sel_hi:[1,0,1] neg_lo:[1,0,1] neg_hi:[1,0,1]
	;; [unrolled: 1-line block ×4, first 2 shown]
	v_pk_add_f32 v[62:63], v[62:63], v[6:7]
	v_pk_add_f32 v[6:7], v[14:15], v[6:7]
	v_pk_fma_f32 v[10:11], v[52:53], s[10:11], v[10:11] op_sel_hi:[1,0,1]
	v_mov_b32_e32 v17, v26
	v_pk_add_f32 v[14:15], v[6:7], v[10:11]
	v_pk_add_f32 v[6:7], v[6:7], v[10:11] neg_lo:[0,1] neg_hi:[0,1]
	v_mov_b32_e32 v11, v15
	v_mov_b32_e32 v10, v6
	v_mul_f32_e32 v6, v51, v106
	v_mov_b32_e32 v15, v7
	v_fma_f32 v6, v50, v107, -v6
	v_mov_b32_e32 v7, v40
	v_mov_b32_e32 v21, v23
	v_mov_b32_e32 v35, v125
	v_mov_b32_e32 v27, v25
	v_mov_b32_e32 v41, v127
	ds_write2_b64 v18, v[10:11], v[14:15] offset0:106 offset1:155
	v_mov_b32_e32 v178, v18
	v_add_f32_e32 v15, v16, v6
	v_pk_add_f32 v[16:17], v[16:17], v[6:7] neg_lo:[0,1] neg_hi:[0,1]
	v_mov_b32_e32 v18, v23
	v_mov_b32_e32 v28, v125
	v_add_f32_e32 v22, v19, v29
	v_pk_add_f32 v[6:7], v[26:27], v[40:41]
	v_mov_b32_e32 v10, v127
	v_mov_b32_e32 v11, v34
	v_pk_add_f32 v[26:27], v[20:21], v[34:35]
	v_mov_b32_e32 v24, v25
	v_mov_b32_e32 v25, v20
	v_pk_add_f32 v[18:19], v[18:19], v[28:29] neg_lo:[0,1] neg_hi:[0,1]
	v_pk_add_f32 v[10:11], v[10:11], v[24:25] neg_lo:[0,1] neg_hi:[0,1]
	v_mov_b32_e32 v20, v26
	v_mov_b32_e32 v21, v15
	;; [unrolled: 1-line block ×6, first 2 shown]
	v_pk_add_f32 v[20:21], v[20:21], v[24:25] neg_lo:[0,1] neg_hi:[0,1]
	v_mov_b32_e32 v24, v10
	v_mov_b32_e32 v25, v17
	;; [unrolled: 1-line block ×4, first 2 shown]
	v_pk_add_f32 v[32:33], v[6:7], v[26:27] neg_lo:[0,1] neg_hi:[0,1]
	v_mov_b32_e32 v27, v7
	v_pk_add_f32 v[6:7], v[22:23], v[14:15]
	v_pk_add_f32 v[24:25], v[24:25], v[28:29] neg_lo:[0,1] neg_hi:[0,1]
	v_mov_b32_e32 v28, v16
	v_pk_add_f32 v[30:31], v[10:11], v[18:19]
	v_mov_b32_e32 v11, v19
	v_pk_add_f32 v[6:7], v[26:27], v[6:7]
	v_pk_add_f32 v[28:29], v[28:29], v[10:11] neg_lo:[0,1] neg_hi:[0,1]
	v_pk_add_f32 v[26:27], v[30:31], v[16:17]
	v_pk_mul_f32 v[20:21], v[20:21], s[8:9]
	v_pk_mul_f32 v[24:25], v[24:25], s[18:19]
	v_pk_add_f32 v[30:31], v[6:7], v[36:37]
	v_pk_fma_f32 v[10:11], v[28:29], s[12:13], v[24:25]
	v_pk_fma_f32 v[34:35], v[6:7], s[16:17], v[30:31] op_sel_hi:[1,0,1] neg_lo:[1,0,0] neg_hi:[1,0,0]
	v_pk_fma_f32 v[6:7], v[32:33], s[14:15], v[20:21]
	v_pk_fma_f32 v[64:65], v[52:53], s[10:11], v[64:65] op_sel_hi:[1,0,1]
	v_pk_add_f32 v[6:7], v[6:7], v[34:35]
	v_pk_fma_f32 v[40:41], v[26:27], s[10:11], v[10:11] op_sel_hi:[1,0,1]
	v_pk_add_f32 v[66:67], v[62:63], v[64:65] neg_lo:[0,1] neg_hi:[0,1]
	v_pk_add_f32 v[62:63], v[62:63], v[64:65]
	v_pk_add_f32 v[10:11], v[6:7], v[40:41]
	v_pk_add_f32 v[6:7], v[6:7], v[40:41] neg_lo:[0,1] neg_hi:[0,1]
	v_accvgpr_read_b32 v189, a7
	v_mov_b32_e32 v64, v60
	v_mov_b32_e32 v65, v73
	;; [unrolled: 1-line block ×8, first 2 shown]
	v_accvgpr_read_b32 v7, a22
	v_pk_add_f32 v[14:15], v[22:23], v[14:15] neg_lo:[0,1] neg_hi:[0,1]
	v_pk_add_f32 v[16:17], v[18:19], v[16:17] neg_lo:[0,1] neg_hi:[0,1]
	v_pk_mul_f32 v[18:19], v[32:33], s[14:15]
	v_pk_mul_f32 v[22:23], v[28:29], s[12:13]
	ds_write2_b64 v225, v[64:65], v[82:83] offset0:136 offset1:185
	ds_write2_b64 v189, v[66:67], v[72:73] offset0:76 offset1:125
	;; [unrolled: 1-line block ×3, first 2 shown]
	v_mov_b32_e32 v28, v18
	v_mov_b32_e32 v29, v21
	;; [unrolled: 1-line block ×6, first 2 shown]
	v_pk_fma_f32 v[28:29], v[14:15], s[2:3], v[28:29] op_sel_hi:[1,0,1] neg_lo:[1,0,1] neg_hi:[1,0,1]
	v_pk_fma_f32 v[30:31], v[16:17], s[6:7], v[30:31] op_sel_hi:[1,0,1] neg_lo:[1,0,1] neg_hi:[1,0,1]
	;; [unrolled: 1-line block ×4, first 2 shown]
	v_pk_add_f32 v[28:29], v[28:29], v[34:35]
	v_pk_fma_f32 v[30:31], v[26:27], s[10:11], v[30:31] op_sel_hi:[1,0,1]
	v_pk_add_f32 v[14:15], v[14:15], v[34:35]
	v_pk_fma_f32 v[16:17], v[26:27], s[10:11], v[16:17] op_sel_hi:[1,0,1]
	v_pk_add_f32 v[32:33], v[28:29], v[30:31]
	v_pk_add_f32 v[28:29], v[28:29], v[30:31] neg_lo:[0,1] neg_hi:[0,1]
	v_pk_add_f32 v[18:19], v[14:15], v[16:17] neg_lo:[0,1] neg_hi:[0,1]
	v_pk_add_f32 v[14:15], v[14:15], v[16:17]
	v_accvgpr_read_b32 v40, a236
	v_mov_b32_e32 v16, v32
	v_mov_b32_e32 v17, v29
	;; [unrolled: 1-line block ×4, first 2 shown]
	v_accvgpr_read_b32 v7, a17
	v_mov_b32_e32 v15, v19
	v_mov_b32_e32 v29, v33
	v_accvgpr_read_b32 v41, a237
	ds_write2_b64 v7, v[16:17], v[20:21] offset0:16 offset1:65
	ds_write2_b64 v7, v[14:15], v[28:29] offset0:114 offset1:163
	v_accvgpr_read_b32 v14, a127
	v_mov_b32_e32 v15, v41
	v_mov_b32_e32 v16, v165
	;; [unrolled: 1-line block ×3, first 2 shown]
	v_accvgpr_read_b32 v42, a238
	v_pk_mul_f32 v[14:15], v[14:15], v[16:17]
	v_accvgpr_read_b32 v16, a126
	v_mov_b32_e32 v17, v40
	v_mov_b32_e32 v18, v164
	;; [unrolled: 1-line block ×3, first 2 shown]
	v_accvgpr_read_b32 v43, a239
	v_pk_fma_f32 v[20:21], v[16:17], v[18:19], v[14:15]
	v_pk_fma_f32 v[14:15], v[16:17], v[18:19], v[14:15] neg_lo:[0,0,1] neg_hi:[0,0,1]
	v_mov_b32_e32 v16, v42
	v_accvgpr_read_b32 v17, a131
	v_mov_b32_e32 v18, v100
	v_mov_b32_e32 v19, v160
	v_accvgpr_read_b32 v28, a126
	v_pk_mul_f32 v[16:17], v[16:17], v[18:19]
	v_mov_b32_e32 v18, v43
	v_accvgpr_read_b32 v19, a130
	v_mov_b32_e32 v22, v101
	v_mov_b32_e32 v23, v161
	v_accvgpr_read_b32 v31, a129
	v_pk_fma_f32 v[24:25], v[18:19], v[22:23], v[16:17]
	v_pk_fma_f32 v[16:17], v[18:19], v[22:23], v[16:17] neg_lo:[0,0,1] neg_hi:[0,0,1]
	v_accvgpr_read_b32 v30, a128
	v_mul_f32_e32 v19, v31, v13
	v_mov_b32_e32 v23, v12
	v_mov_b32_e32 v26, v41
	;; [unrolled: 1-line block ×4, first 2 shown]
	v_fmac_f32_e32 v19, v30, v12
	v_pk_mul_f32 v[22:23], v[26:27], v[22:23]
	v_mov_b32_e32 v27, v30
	v_accvgpr_read_b32 v30, a130
	v_accvgpr_read_b32 v29, a127
	v_mov_b32_e32 v26, v40
	v_mov_b32_e32 v12, v172
	v_accvgpr_read_b32 v33, a133
	v_mov_b64_e32 v[36:37], v[28:29]
	v_pk_fma_f32 v[12:13], v[26:27], v[12:13], v[22:23] neg_lo:[0,0,1] neg_hi:[0,0,1]
	v_mov_b32_e32 v27, v42
	v_accvgpr_read_b32 v32, a132
	v_mov_b32_e32 v42, v33
	v_mov_b32_e32 v28, v109
	;; [unrolled: 1-line block ×3, first 2 shown]
	v_accvgpr_read_b32 v31, a131
	v_pk_mul_f32 v[28:29], v[42:43], v[28:29]
	v_mov_b32_e32 v26, v32
	v_mul_f32_e32 v7, v33, v108
	v_mov_b32_e32 v34, v108
	v_mov_b32_e32 v35, v101
	v_pk_fma_f32 v[22:23], v[40:41], v[172:173], v[22:23]
	v_mul_f32_e32 v31, v31, v161
	v_fma_f32 v32, v32, v109, -v7
	v_pk_fma_f32 v[40:41], v[26:27], v[34:35], v[28:29]
	v_pk_fma_f32 v[26:27], v[26:27], v[34:35], v[28:29] neg_lo:[0,0,1] neg_hi:[0,0,1]
	v_mul_f32_e32 v7, v37, v164
	v_fmac_f32_e32 v31, v30, v160
	v_fma_f32 v28, v36, v165, -v7
	v_mov_b32_e32 v23, v13
	v_mov_b32_e32 v18, v13
	;; [unrolled: 1-line block ×8, first 2 shown]
	v_add_f32_e32 v35, v28, v32
	v_add_f32_e32 v14, v19, v31
	v_pk_add_f32 v[16:17], v[18:19], v[30:31] neg_lo:[0,1] neg_hi:[0,1]
	v_pk_add_f32 v[12:13], v[20:21], v[40:41]
	v_mov_b32_e32 v18, v27
	v_mov_b32_e32 v19, v24
	v_pk_add_f32 v[20:21], v[22:23], v[24:25]
	v_mov_b32_e32 v24, v15
	v_mov_b32_e32 v25, v22
	v_pk_add_f32 v[28:29], v[28:29], v[32:33] neg_lo:[0,1] neg_hi:[0,1]
	v_pk_add_f32 v[18:19], v[18:19], v[24:25] neg_lo:[0,1] neg_hi:[0,1]
	v_mov_b32_e32 v22, v20
	v_mov_b32_e32 v23, v35
	;; [unrolled: 1-line block ×6, first 2 shown]
	v_pk_add_f32 v[22:23], v[22:23], v[24:25] neg_lo:[0,1] neg_hi:[0,1]
	v_mov_b32_e32 v24, v18
	v_mov_b32_e32 v25, v29
	;; [unrolled: 1-line block ×4, first 2 shown]
	v_pk_add_f32 v[32:33], v[12:13], v[20:21] neg_lo:[0,1] neg_hi:[0,1]
	v_mov_b32_e32 v21, v13
	v_pk_add_f32 v[12:13], v[14:15], v[34:35]
	v_pk_add_f32 v[24:25], v[24:25], v[26:27] neg_lo:[0,1] neg_hi:[0,1]
	v_mov_b32_e32 v26, v28
	v_pk_add_f32 v[30:31], v[18:19], v[16:17]
	v_mov_b32_e32 v19, v17
	v_pk_add_f32 v[12:13], v[20:21], v[12:13]
	v_pk_add_f32 v[26:27], v[26:27], v[18:19] neg_lo:[0,1] neg_hi:[0,1]
	v_pk_add_f32 v[20:21], v[12:13], v[38:39]
	v_pk_mul_f32 v[22:23], v[22:23], s[8:9]
	v_pk_mul_f32 v[24:25], v[24:25], s[18:19]
	v_pk_add_f32 v[30:31], v[30:31], v[28:29]
	v_pk_fma_f32 v[40:41], v[12:13], s[16:17], v[20:21] op_sel_hi:[1,0,1] neg_lo:[1,0,0] neg_hi:[1,0,0]
	v_pk_fma_f32 v[12:13], v[32:33], s[14:15], v[22:23]
	v_pk_fma_f32 v[18:19], v[26:27], s[12:13], v[24:25]
	v_pk_add_f32 v[12:13], v[12:13], v[40:41]
	v_pk_fma_f32 v[42:43], v[30:31], s[10:11], v[18:19] op_sel_hi:[1,0,1]
	v_accvgpr_read_b32 v7, a16
	v_pk_add_f32 v[18:19], v[12:13], v[42:43]
	v_pk_add_f32 v[12:13], v[12:13], v[42:43] neg_lo:[0,1] neg_hi:[0,1]
	v_mov_b32_e32 v42, v18
	v_mov_b32_e32 v43, v13
	ds_write2_b64 v7, v[20:21], v[42:43] offset0:5 offset1:54
	v_pk_mul_f32 v[20:21], v[32:33], s[14:15]
	v_pk_mul_f32 v[26:27], v[26:27], s[12:13]
	v_pk_add_f32 v[14:15], v[14:15], v[34:35] neg_lo:[0,1] neg_hi:[0,1]
	v_pk_add_f32 v[16:17], v[16:17], v[28:29] neg_lo:[0,1] neg_hi:[0,1]
	v_mov_b32_e32 v28, v20
	v_mov_b32_e32 v29, v23
	;; [unrolled: 1-line block ×6, first 2 shown]
	v_pk_fma_f32 v[28:29], v[14:15], s[2:3], v[28:29] op_sel_hi:[1,0,1] neg_lo:[1,0,1] neg_hi:[1,0,1]
	v_pk_fma_f32 v[32:33], v[16:17], s[6:7], v[32:33] op_sel_hi:[1,0,1] neg_lo:[1,0,1] neg_hi:[1,0,1]
	;; [unrolled: 1-line block ×4, first 2 shown]
	v_pk_add_f32 v[28:29], v[28:29], v[40:41]
	v_pk_fma_f32 v[32:33], v[30:31], s[10:11], v[32:33] op_sel_hi:[1,0,1]
	v_pk_add_f32 v[14:15], v[14:15], v[40:41]
	v_pk_fma_f32 v[16:17], v[30:31], s[10:11], v[16:17] op_sel_hi:[1,0,1]
	v_pk_add_f32 v[34:35], v[28:29], v[32:33]
	v_pk_add_f32 v[28:29], v[28:29], v[32:33] neg_lo:[0,1] neg_hi:[0,1]
	v_pk_add_f32 v[20:21], v[14:15], v[16:17] neg_lo:[0,1] neg_hi:[0,1]
	v_pk_add_f32 v[14:15], v[14:15], v[16:17]
	v_mov_b32_e32 v17, v29
	v_mov_b32_e32 v23, v15
	;; [unrolled: 1-line block ×5, first 2 shown]
	ds_write2_b64 v7, v[14:15], v[28:29] offset0:201 offset1:250
	v_accvgpr_read_b32 v34, a194
	v_accvgpr_read_b32 v28, a114
	v_mov_b32_e32 v22, v20
	v_accvgpr_read_b32 v35, a195
	v_accvgpr_read_b32 v31, a117
	ds_write2_b64 v7, v[16:17], v[22:23] offset0:103 offset1:152
	v_mov_b32_e32 v14, v35
	v_accvgpr_read_b32 v15, a117
	v_mov_b32_e32 v16, v175
	v_mov_b32_e32 v17, v156
	v_accvgpr_read_b32 v29, a115
	v_accvgpr_read_b32 v30, a116
	v_mul_f32_e32 v27, v31, v157
	v_accvgpr_read_b32 v42, a198
	v_accvgpr_read_b32 v36, a196
	v_pk_mul_f32 v[14:15], v[14:15], v[16:17]
	v_mov_b32_e32 v16, v34
	v_accvgpr_read_b32 v17, a116
	v_mov_b32_e32 v20, v174
	v_mov_b32_e32 v21, v157
	;; [unrolled: 1-line block ×4, first 2 shown]
	v_fmac_f32_e32 v27, v30, v156
	v_mov_b32_e32 v30, v29
	v_mov_b32_e32 v31, v35
	v_accvgpr_read_b32 v43, a199
	v_accvgpr_read_b32 v37, a197
	v_pk_fma_f32 v[16:17], v[16:17], v[20:21], v[14:15] neg_lo:[0,0,1] neg_hi:[0,0,1]
	v_pk_fma_f32 v[14:15], v[34:35], v[174:175], v[14:15]
	v_mov_b32_e32 v21, v175
	v_mov_b32_e32 v20, v166
	v_mul_f32_e32 v7, v29, v166
	v_pk_mul_f32 v[22:23], v[30:31], v[22:23]
	v_mov_b32_e32 v29, v34
	v_mov_b32_e32 v33, v162
	;; [unrolled: 1-line block ×5, first 2 shown]
	v_fma_f32 v24, v28, v167, -v7
	v_pk_fma_f32 v[30:31], v[28:29], v[20:21], v[22:23]
	v_pk_fma_f32 v[20:21], v[28:29], v[20:21], v[22:23] neg_lo:[0,0,1] neg_hi:[0,0,1]
	v_accvgpr_read_b32 v45, a201
	v_mov_b32_e32 v29, v163
	v_pk_mul_f32 v[32:33], v[34:35], v[32:33]
	v_mov_b32_e32 v34, v37
	v_mov_b32_e32 v35, v42
	;; [unrolled: 1-line block ×3, first 2 shown]
	v_accvgpr_read_b32 v44, a200
	v_mul_f32_e32 v23, v43, v163
	v_pk_fma_f32 v[40:41], v[34:35], v[28:29], v[32:33]
	v_pk_fma_f32 v[28:29], v[34:35], v[28:29], v[32:33] neg_lo:[0,0,1] neg_hi:[0,0,1]
	v_mov_b32_e32 v33, v36
	v_mov_b32_e32 v36, v45
	;; [unrolled: 1-line block ×4, first 2 shown]
	v_fmac_f32_e32 v23, v42, v162
	v_pk_mul_f32 v[34:35], v[36:37], v[34:35]
	v_mov_b32_e32 v32, v44
	v_mov_b32_e32 v42, v128
	;; [unrolled: 1-line block ×3, first 2 shown]
	v_pk_fma_f32 v[48:49], v[32:33], v[42:43], v[34:35]
	v_pk_fma_f32 v[32:33], v[32:33], v[42:43], v[34:35] neg_lo:[0,0,1] neg_hi:[0,0,1]
	v_mul_f32_e32 v7, v45, v128
	v_fma_f32 v34, v44, v129, -v7
	v_mov_b32_e32 v15, v17
	v_mov_b32_e32 v26, v17
	;; [unrolled: 1-line block ×8, first 2 shown]
	v_add_f32_e32 v43, v24, v34
	v_add_f32_e32 v16, v27, v23
	v_pk_add_f32 v[26:27], v[26:27], v[22:23] neg_lo:[0,1] neg_hi:[0,1]
	v_pk_add_f32 v[22:23], v[30:31], v[48:49]
	v_mov_b32_e32 v28, v33
	v_mov_b32_e32 v29, v40
	v_pk_add_f32 v[30:31], v[14:15], v[40:41]
	v_mov_b32_e32 v20, v21
	v_mov_b32_e32 v21, v14
	v_pk_add_f32 v[24:25], v[24:25], v[34:35] neg_lo:[0,1] neg_hi:[0,1]
	v_pk_add_f32 v[14:15], v[28:29], v[20:21] neg_lo:[0,1] neg_hi:[0,1]
	v_mov_b32_e32 v20, v30
	v_mov_b32_e32 v21, v43
	;; [unrolled: 1-line block ×4, first 2 shown]
	v_pk_add_f32 v[20:21], v[20:21], v[28:29] neg_lo:[0,1] neg_hi:[0,1]
	v_mov_b32_e32 v28, v14
	v_mov_b32_e32 v29, v25
	;; [unrolled: 1-line block ×4, first 2 shown]
	v_pk_add_f32 v[28:29], v[28:29], v[32:33] neg_lo:[0,1] neg_hi:[0,1]
	v_mov_b32_e32 v32, v24
	v_pk_add_f32 v[34:35], v[14:15], v[26:27]
	v_mov_b32_e32 v15, v27
	v_mov_b32_e32 v17, v31
	;; [unrolled: 1-line block ×3, first 2 shown]
	v_pk_add_f32 v[14:15], v[32:33], v[14:15] neg_lo:[0,1] neg_hi:[0,1]
	v_pk_add_f32 v[32:33], v[22:23], v[30:31] neg_lo:[0,1] neg_hi:[0,1]
	v_mov_b32_e32 v31, v23
	v_pk_add_f32 v[22:23], v[16:17], v[42:43]
	v_pk_mul_f32 v[28:29], v[28:29], s[18:19]
	v_pk_add_f32 v[22:23], v[30:31], v[22:23]
	v_pk_add_f32 v[30:31], v[34:35], v[24:25]
	v_pk_mul_f32 v[34:35], v[20:21], s[8:9]
	v_pk_add_f32 v[40:41], v[22:23], v[110:111]
	v_pk_fma_f32 v[20:21], v[32:33], s[14:15], v[34:35]
	v_pk_fma_f32 v[48:49], v[22:23], s[16:17], v[40:41] op_sel_hi:[1,0,1] neg_lo:[1,0,0] neg_hi:[1,0,0]
	v_pk_fma_f32 v[22:23], v[14:15], s[12:13], v[28:29]
	v_pk_add_f32 v[20:21], v[20:21], v[48:49]
	v_pk_fma_f32 v[50:51], v[30:31], s[10:11], v[22:23] op_sel_hi:[1,0,1]
	v_accvgpr_read_b32 v7, a20
	v_pk_add_f32 v[22:23], v[20:21], v[50:51]
	v_pk_add_f32 v[20:21], v[20:21], v[50:51] neg_lo:[0,1] neg_hi:[0,1]
	v_mov_b32_e32 v50, v22
	v_mov_b32_e32 v51, v21
	v_pk_add_f32 v[24:25], v[26:27], v[24:25] neg_lo:[0,1] neg_hi:[0,1]
	v_pk_mul_f32 v[26:27], v[32:33], s[14:15]
	v_pk_mul_f32 v[14:15], v[14:15], s[12:13]
	ds_write2_b64 v7, v[40:41], v[50:51] offset0:92 offset1:141
	v_pk_add_f32 v[16:17], v[16:17], v[42:43] neg_lo:[0,1] neg_hi:[0,1]
	v_mov_b32_e32 v32, v26
	v_mov_b32_e32 v33, v35
	;; [unrolled: 1-line block ×6, first 2 shown]
	v_pk_fma_f32 v[32:33], v[16:17], s[2:3], v[32:33] op_sel_hi:[1,0,1] neg_lo:[1,0,1] neg_hi:[1,0,1]
	v_pk_fma_f32 v[40:41], v[24:25], s[6:7], v[40:41] op_sel_hi:[1,0,1] neg_lo:[1,0,1] neg_hi:[1,0,1]
	;; [unrolled: 1-line block ×4, first 2 shown]
	v_pk_add_f32 v[32:33], v[32:33], v[48:49]
	v_pk_fma_f32 v[40:41], v[30:31], s[10:11], v[40:41] op_sel_hi:[1,0,1]
	v_pk_add_f32 v[16:17], v[16:17], v[48:49]
	v_pk_fma_f32 v[14:15], v[30:31], s[10:11], v[14:15] op_sel_hi:[1,0,1]
	v_pk_add_f32 v[42:43], v[32:33], v[40:41]
	v_pk_add_f32 v[32:33], v[32:33], v[40:41] neg_lo:[0,1] neg_hi:[0,1]
	v_pk_add_f32 v[24:25], v[16:17], v[14:15] neg_lo:[0,1] neg_hi:[0,1]
	v_pk_add_f32 v[14:15], v[16:17], v[14:15]
	v_mov_b32_e32 v16, v42
	v_mov_b32_e32 v17, v33
	;; [unrolled: 1-line block ×4, first 2 shown]
	v_accvgpr_read_b32 v46, a182
	ds_write2_b64 v7, v[16:17], v[26:27] offset0:190 offset1:239
	v_mov_b32_e32 v15, v25
	v_mov_b32_e32 v33, v43
	v_accvgpr_read_b32 v7, a19
	v_accvgpr_read_b32 v47, a183
	ds_write2_b64 v7, v[14:15], v[32:33] offset0:32 offset1:81
	v_accvgpr_read_b32 v14, a119
	v_mov_b32_e32 v15, v47
	v_mov_b32_e32 v16, v97
	;; [unrolled: 1-line block ×3, first 2 shown]
	v_accvgpr_read_b32 v42, a122
	v_accvgpr_read_b32 v48, a184
	v_pk_mul_f32 v[14:15], v[14:15], v[16:17]
	v_accvgpr_read_b32 v16, a118
	v_mov_b32_e32 v17, v46
	v_mov_b32_e32 v24, v96
	;; [unrolled: 1-line block ×3, first 2 shown]
	v_accvgpr_read_b32 v43, a123
	v_accvgpr_read_b32 v36, a118
	;; [unrolled: 1-line block ×3, first 2 shown]
	v_pk_fma_f32 v[26:27], v[16:17], v[24:25], v[14:15]
	v_pk_fma_f32 v[14:15], v[16:17], v[24:25], v[14:15] neg_lo:[0,0,1] neg_hi:[0,0,1]
	v_mov_b32_e32 v16, v48
	v_mov_b32_e32 v17, v43
	;; [unrolled: 1-line block ×4, first 2 shown]
	v_accvgpr_read_b32 v39, a121
	v_pk_mul_f32 v[16:17], v[16:17], v[24:25]
	v_mov_b32_e32 v24, v49
	v_mov_b32_e32 v25, v42
	v_mov_b32_e32 v28, v123
	v_mov_b32_e32 v29, v93
	v_accvgpr_read_b32 v38, a120
	v_mov_b32_e32 v33, v158
	v_mov_b32_e32 v34, v47
	;; [unrolled: 1-line block ×4, first 2 shown]
	v_accvgpr_read_b32 v45, a125
	v_pk_fma_f32 v[30:31], v[24:25], v[28:29], v[16:17]
	v_pk_fma_f32 v[16:17], v[24:25], v[28:29], v[16:17] neg_lo:[0,0,1] neg_hi:[0,0,1]
	v_mov_b32_e32 v29, v159
	v_pk_mul_f32 v[32:33], v[34:35], v[32:33]
	v_mov_b32_e32 v34, v46
	v_mov_b32_e32 v35, v38
	;; [unrolled: 1-line block ×3, first 2 shown]
	v_accvgpr_read_b32 v44, a124
	v_pk_fma_f32 v[28:29], v[34:35], v[28:29], v[32:33] neg_lo:[0,0,1] neg_hi:[0,0,1]
	v_mov_b32_e32 v35, v48
	v_mov_b32_e32 v48, v45
	;; [unrolled: 1-line block ×4, first 2 shown]
	v_pk_mul_f32 v[40:41], v[48:49], v[40:41]
	v_mov_b32_e32 v34, v44
	v_mov_b32_e32 v50, v130
	;; [unrolled: 1-line block ×3, first 2 shown]
	v_accvgpr_read_b32 v37, a119
	v_mul_f32_e32 v25, v39, v159
	v_pk_fma_f32 v[32:33], v[46:47], v[102:103], v[32:33]
	v_mul_f32_e32 v43, v43, v93
	v_mul_f32_e32 v7, v45, v130
	v_pk_fma_f32 v[52:53], v[34:35], v[50:51], v[40:41]
	v_pk_fma_f32 v[34:35], v[34:35], v[50:51], v[40:41] neg_lo:[0,0,1] neg_hi:[0,0,1]
	v_fmac_f32_e32 v25, v38, v158
	v_fmac_f32_e32 v43, v42, v92
	v_fma_f32 v48, v44, v131, -v7
	v_mul_f32_e32 v7, v37, v96
	v_mov_b32_e32 v33, v29
	v_mov_b32_e32 v24, v29
	;; [unrolled: 1-line block ×6, first 2 shown]
	v_fma_f32 v40, v36, v97, -v7
	v_add_f32_e32 v14, v25, v43
	v_pk_add_f32 v[16:17], v[24:25], v[42:43] neg_lo:[0,1] neg_hi:[0,1]
	v_pk_add_f32 v[24:25], v[26:27], v[52:53]
	v_pk_add_f32 v[28:29], v[32:33], v[30:31]
	v_mov_b32_e32 v41, v26
	v_mov_b32_e32 v49, v52
	v_add_f32_e32 v51, v40, v48
	v_mov_b32_e32 v26, v35
	v_mov_b32_e32 v27, v30
	;; [unrolled: 1-line block ×6, first 2 shown]
	v_pk_add_f32 v[40:41], v[40:41], v[48:49] neg_lo:[0,1] neg_hi:[0,1]
	v_pk_add_f32 v[26:27], v[26:27], v[30:31] neg_lo:[0,1] neg_hi:[0,1]
	v_mov_b32_e32 v30, v28
	v_mov_b32_e32 v31, v51
	;; [unrolled: 1-line block ×4, first 2 shown]
	v_pk_add_f32 v[48:49], v[24:25], v[28:29] neg_lo:[0,1] neg_hi:[0,1]
	v_mov_b32_e32 v29, v25
	v_pk_add_f32 v[24:25], v[14:15], v[50:51]
	v_pk_add_f32 v[30:31], v[30:31], v[32:33] neg_lo:[0,1] neg_hi:[0,1]
	v_mov_b32_e32 v32, v26
	v_mov_b32_e32 v33, v41
	;; [unrolled: 1-line block ×4, first 2 shown]
	v_pk_add_f32 v[24:25], v[28:29], v[24:25]
	v_pk_add_f32 v[32:33], v[32:33], v[34:35] neg_lo:[0,1] neg_hi:[0,1]
	v_mov_b32_e32 v34, v40
	v_pk_add_f32 v[42:43], v[26:27], v[16:17]
	v_mov_b32_e32 v27, v17
	v_pk_add_f32 v[28:29], v[24:25], v[112:113]
	v_pk_mul_f32 v[30:31], v[30:31], s[8:9]
	v_pk_add_f32 v[34:35], v[34:35], v[26:27] neg_lo:[0,1] neg_hi:[0,1]
	v_pk_mul_f32 v[32:33], v[32:33], s[18:19]
	v_pk_fma_f32 v[52:53], v[24:25], s[16:17], v[28:29] op_sel_hi:[1,0,1] neg_lo:[1,0,0] neg_hi:[1,0,0]
	v_pk_fma_f32 v[24:25], v[48:49], s[14:15], v[30:31]
	v_pk_add_f32 v[42:43], v[42:43], v[40:41]
	v_pk_add_f32 v[26:27], v[24:25], v[52:53]
	v_pk_fma_f32 v[24:25], v[34:35], s[12:13], v[32:33]
	v_accvgpr_read_b32 v36, a110
	v_pk_fma_f32 v[54:55], v[42:43], s[10:11], v[24:25] op_sel_hi:[1,0,1]
	v_accvgpr_read_b32 v44, a150
	v_pk_add_f32 v[24:25], v[26:27], v[54:55] neg_lo:[0,1] neg_hi:[0,1]
	v_pk_add_f32 v[26:27], v[26:27], v[54:55]
	v_mov_b32_e32 v55, v25
	v_mov_b32_e32 v54, v26
	v_accvgpr_read_b32 v7, a18
	v_accvgpr_read_b32 v37, a111
	;; [unrolled: 1-line block ×4, first 2 shown]
	v_mov_b32_e32 v202, v56
	v_mov_b32_e32 v203, v57
	ds_write2_b64 v7, v[28:29], v[54:55] offset0:179 offset1:228
	v_accvgpr_read_b32 v38, a112
	v_mul_f32_e32 v55, v39, v9
	v_mov_b32_e32 v29, v8
	v_mov_b32_e32 v56, v45
	v_mov_b32_e32 v57, v39
	v_mov_b32_e32 v28, v105
	v_mul_f32_e32 v7, v37, v98
	v_fmac_f32_e32 v55, v38, v8
	v_pk_mul_f32 v[28:29], v[56:57], v[28:29]
	v_mov_b32_e32 v57, v38
	v_fma_f32 v60, v36, v99, -v7
	v_mov_b32_e32 v62, v36
	v_mov_b32_e32 v64, v37
	v_accvgpr_read_b32 v36, a154
	v_accvgpr_read_b32 v46, a152
	v_mov_b32_e32 v56, v44
	v_mov_b32_e32 v8, v104
	;; [unrolled: 1-line block ×5, first 2 shown]
	v_accvgpr_read_b32 v37, a155
	v_accvgpr_read_b32 v47, a153
	v_pk_fma_f32 v[8:9], v[56:57], v[8:9], v[28:29] neg_lo:[0,0,1] neg_hi:[0,0,1]
	v_pk_fma_f32 v[56:57], v[44:45], v[104:105], v[28:29]
	v_mov_b32_e32 v29, v105
	v_mov_b32_e32 v28, v98
	v_pk_mul_f32 v[58:59], v[64:65], v[58:59]
	v_mov_b32_e32 v63, v44
	v_mov_b32_e32 v67, v94
	v_mov_b32_e32 v68, v46
	v_mov_b32_e32 v69, v37
	v_mov_b32_e32 v66, v4
	v_pk_fma_f32 v[64:65], v[62:63], v[28:29], v[58:59]
	v_pk_fma_f32 v[28:29], v[62:63], v[28:29], v[58:59] neg_lo:[0,0,1] neg_hi:[0,0,1]
	v_accvgpr_read_b32 v39, a157
	v_mov_b32_e32 v63, v95
	v_pk_mul_f32 v[66:67], v[68:69], v[66:67]
	v_mov_b32_e32 v68, v47
	v_mov_b32_e32 v69, v36
	;; [unrolled: 1-line block ×3, first 2 shown]
	v_accvgpr_read_b32 v38, a156
	v_pk_fma_f32 v[70:71], v[68:69], v[62:63], v[66:67]
	v_pk_fma_f32 v[62:63], v[68:69], v[62:63], v[66:67] neg_lo:[0,0,1] neg_hi:[0,0,1]
	v_mov_b32_e32 v67, v46
	v_mov_b32_e32 v46, v39
	;; [unrolled: 1-line block ×4, first 2 shown]
	v_mul_f32_e32 v4, v39, v2
	v_pk_mul_f32 v[68:69], v[46:47], v[68:69]
	v_mov_b32_e32 v66, v38
	v_fma_f32 v72, v38, v3, -v4
	v_mov_b32_e32 v3, v5
	v_pk_fma_f32 v[74:75], v[66:67], v[2:3], v[68:69]
	v_pk_fma_f32 v[66:67], v[66:67], v[2:3], v[68:69] neg_lo:[0,0,1] neg_hi:[0,0,1]
	v_pk_add_f32 v[2:3], v[14:15], v[50:51] neg_lo:[0,1] neg_hi:[0,1]
	v_pk_add_f32 v[4:5], v[16:17], v[40:41] neg_lo:[0,1] neg_hi:[0,1]
	v_pk_mul_f32 v[14:15], v[48:49], s[14:15]
	v_pk_mul_f32 v[16:17], v[34:35], s[12:13]
	v_mov_b32_e32 v34, v14
	v_mov_b32_e32 v35, v31
	;; [unrolled: 1-line block ×6, first 2 shown]
	v_pk_fma_f32 v[34:35], v[2:3], s[2:3], v[34:35] op_sel_hi:[1,0,1] neg_lo:[1,0,1] neg_hi:[1,0,1]
	v_pk_fma_f32 v[40:41], v[4:5], s[6:7], v[40:41] op_sel_hi:[1,0,1] neg_lo:[1,0,1] neg_hi:[1,0,1]
	;; [unrolled: 1-line block ×4, first 2 shown]
	v_pk_add_f32 v[34:35], v[34:35], v[52:53]
	v_pk_fma_f32 v[40:41], v[42:43], s[10:11], v[40:41] op_sel_hi:[1,0,1]
	v_pk_add_f32 v[2:3], v[2:3], v[52:53]
	v_pk_fma_f32 v[4:5], v[42:43], s[10:11], v[4:5] op_sel_hi:[1,0,1]
	v_mul_f32_e32 v59, v37, v95
	v_pk_add_f32 v[48:49], v[34:35], v[40:41] neg_lo:[0,1] neg_hi:[0,1]
	v_pk_add_f32 v[34:35], v[34:35], v[40:41]
	v_pk_add_f32 v[14:15], v[2:3], v[4:5]
	v_pk_add_f32 v[16:17], v[2:3], v[4:5] neg_lo:[0,1] neg_hi:[0,1]
	v_fmac_f32_e32 v59, v36, v94
	v_mov_b32_e32 v2, v34
	v_mov_b32_e32 v3, v49
	;; [unrolled: 1-line block ×4, first 2 shown]
	v_accvgpr_read_b32 v7, a245
	v_mov_b32_e32 v57, v9
	v_mov_b32_e32 v71, v63
	;; [unrolled: 1-line block ×4, first 2 shown]
	ds_write2_b64 v7, v[2:3], v[4:5] offset0:21 offset1:70
	v_mov_b32_e32 v61, v64
	v_mov_b32_e32 v73, v74
	v_add_f32_e32 v5, v60, v72
	v_mov_b32_e32 v54, v9
	v_mov_b32_e32 v58, v63
	v_add_f32_e32 v28, v55, v59
	v_pk_add_f32 v[30:31], v[64:65], v[74:75]
	v_mov_b32_e32 v32, v67
	v_mov_b32_e32 v33, v70
	v_pk_add_f32 v[42:43], v[56:57], v[70:71]
	v_mov_b32_e32 v40, v29
	v_mov_b32_e32 v41, v56
	;; [unrolled: 1-line block ×4, first 2 shown]
	v_pk_add_f32 v[2:3], v[60:61], v[72:73] neg_lo:[0,1] neg_hi:[0,1]
	v_pk_add_f32 v[8:9], v[54:55], v[58:59] neg_lo:[0,1] neg_hi:[0,1]
	;; [unrolled: 1-line block ×3, first 2 shown]
	ds_write2_b64 v7, v[14:15], v[48:49] offset0:119 offset1:168
	v_mov_b32_e32 v14, v42
	v_mov_b32_e32 v15, v5
	;; [unrolled: 1-line block ×5, first 2 shown]
	v_accvgpr_read_b32 v13, a246
	v_pk_add_f32 v[14:15], v[14:15], v[16:17] neg_lo:[0,1] neg_hi:[0,1]
	ds_write_b64 v13, v[6:7] offset:7840
	v_mov_b32_e32 v6, v32
	v_mov_b32_e32 v7, v3
	;; [unrolled: 1-line block ×6, first 2 shown]
	v_pk_add_f32 v[10:11], v[32:33], v[8:9]
	v_pk_add_f32 v[6:7], v[6:7], v[16:17] neg_lo:[0,1] neg_hi:[0,1]
	v_mov_b32_e32 v16, v2
	v_mov_b32_e32 v33, v9
	v_pk_add_f32 v[16:17], v[16:17], v[32:33] neg_lo:[0,1] neg_hi:[0,1]
	v_pk_add_f32 v[32:33], v[30:31], v[42:43] neg_lo:[0,1] neg_hi:[0,1]
	v_mov_b32_e32 v43, v31
	v_pk_add_f32 v[30:31], v[28:29], v[4:5]
	v_mov_b32_e32 v13, v19
	v_pk_add_f32 v[30:31], v[42:43], v[30:31]
	v_accvgpr_read_b32 v18, a244
	v_pk_add_f32 v[0:1], v[30:31], v[0:1]
	v_pk_mul_f32 v[14:15], v[14:15], s[8:9]
	v_pk_mul_f32 v[6:7], v[6:7], s[18:19]
	v_mov_b32_e32 v21, v23
	v_accvgpr_read_b32 v25, a243
	ds_write_b64 v18, v[12:13] offset:10584
	v_pk_add_f32 v[10:11], v[10:11], v[2:3]
	v_pk_fma_f32 v[18:19], v[30:31], s[16:17], v[0:1] op_sel_hi:[1,0,1] neg_lo:[1,0,0] neg_hi:[1,0,0]
	v_pk_fma_f32 v[22:23], v[32:33], s[14:15], v[14:15]
	ds_write_b64 v25, v[20:21] offset:13328
	v_pk_fma_f32 v[20:21], v[16:17], s[12:13], v[6:7]
	v_pk_add_f32 v[22:23], v[22:23], v[18:19]
	v_pk_fma_f32 v[20:21], v[10:11], s[10:11], v[20:21] op_sel_hi:[1,0,1]
	v_mov_b32_e32 v25, v27
	v_pk_add_f32 v[30:31], v[22:23], v[20:21] neg_lo:[0,1] neg_hi:[0,1]
	v_pk_add_f32 v[20:21], v[22:23], v[20:21]
	v_pk_mul_f32 v[26:27], v[32:33], s[14:15]
	v_accvgpr_read_b32 v32, a242
	v_pk_mul_f32 v[16:17], v[16:17], s[12:13]
	ds_write_b64 v32, v[24:25] offset:16072
	v_mov_b32_e32 v24, v20
	v_mov_b32_e32 v25, v31
	v_accvgpr_read_b32 v20, a240
	ds_write2_b64 v20, v[0:1], v[24:25] offset0:10 offset1:59
	v_pk_add_f32 v[0:1], v[28:29], v[4:5] neg_lo:[0,1] neg_hi:[0,1]
	v_pk_add_f32 v[2:3], v[8:9], v[2:3] neg_lo:[0,1] neg_hi:[0,1]
	v_mov_b32_e32 v4, v26
	v_mov_b32_e32 v5, v15
	;; [unrolled: 1-line block ×6, first 2 shown]
	v_pk_fma_f32 v[4:5], v[0:1], s[2:3], v[4:5] op_sel_hi:[1,0,1] neg_lo:[1,0,1] neg_hi:[1,0,1]
	v_pk_fma_f32 v[8:9], v[2:3], s[6:7], v[8:9] op_sel_hi:[1,0,1] neg_lo:[1,0,1] neg_hi:[1,0,1]
	;; [unrolled: 1-line block ×4, first 2 shown]
	v_pk_add_f32 v[4:5], v[4:5], v[18:19]
	v_pk_fma_f32 v[8:9], v[10:11], s[10:11], v[8:9] op_sel_hi:[1,0,1]
	v_pk_add_f32 v[0:1], v[0:1], v[18:19]
	v_pk_fma_f32 v[2:3], v[10:11], s[10:11], v[2:3] op_sel_hi:[1,0,1]
	v_pk_add_f32 v[24:25], v[4:5], v[8:9] neg_lo:[0,1] neg_hi:[0,1]
	v_pk_add_f32 v[4:5], v[4:5], v[8:9]
	v_pk_add_f32 v[6:7], v[0:1], v[2:3]
	v_pk_add_f32 v[0:1], v[0:1], v[2:3] neg_lo:[0,1] neg_hi:[0,1]
	v_mov_b32_e32 v8, v4
	v_mov_b32_e32 v9, v25
	;; [unrolled: 1-line block ×4, first 2 shown]
	v_accvgpr_read_b32 v0, a240
	v_mov_b32_e32 v7, v1
	v_mov_b32_e32 v25, v5
	ds_write2_b64 v0, v[8:9], v[2:3] offset0:108 offset1:157
	ds_write2_b64 v0, v[6:7], v[24:25] offset0:206 offset1:255
	v_mov_b32_e32 v31, v21
	v_accvgpr_read_b32 v0, a241
	ds_write_b64 v0, v[30:31] offset:18816
	s_waitcnt lgkmcnt(0)
	; wave barrier
	s_waitcnt lgkmcnt(0)
	ds_read2_b64 v[0:3], v225 offset0:38 offset1:87
	ds_read2_b64 v[18:21], v189 offset0:174 offset1:223
	ds_read2_b64 v[8:11], v218 offset0:84 offset1:133
	ds_read2_b64 v[24:27], v203 offset0:92 offset1:141
	ds_read2_b64 v[4:7], v201 offset0:130 offset1:179
	ds_read2_b64 v[54:57], v187 offset0:10 offset1:59
	ds_read2_b64 v[58:61], v225 offset0:136 offset1:185
	v_accvgpr_read_b32 v12, a1
	v_mov_b32_e32 v13, v233
	s_waitcnt lgkmcnt(6)
	v_mov_b32_e32 v16, v3
	s_waitcnt lgkmcnt(4)
	v_mov_b32_e32 v17, v10
	v_accvgpr_read_b32 v42, a0
	v_mov_b32_e32 v43, v232
	v_mov_b32_e32 v14, v2
	v_mov_b32_e32 v15, v11
	v_pk_mul_f32 v[12:13], v[12:13], v[16:17]
	v_mov_b32_e32 v22, v234
	v_accvgpr_read_b32 v23, a233
	v_pk_fma_f32 v[34:35], v[42:43], v[14:15], v[12:13]
	v_pk_fma_f32 v[28:29], v[42:43], v[14:15], v[12:13] neg_lo:[0,0,1] neg_hi:[0,0,1]
	s_waitcnt lgkmcnt(3)
	v_mov_b32_e32 v14, v24
	s_waitcnt lgkmcnt(2)
	v_mov_b32_e32 v15, v6
	v_mov_b32_e32 v40, v235
	v_accvgpr_read_b32 v41, a232
	v_mov_b32_e32 v12, v25
	v_mov_b32_e32 v13, v7
	v_pk_mul_f32 v[14:15], v[22:23], v[14:15]
	ds_read2_b64 v[92:95], v217 offset0:54 offset1:103
	v_mov_b32_e32 v50, v233
	v_accvgpr_read_b32 v51, a3
	v_pk_fma_f32 v[42:43], v[40:41], v[12:13], v[14:15]
	v_pk_fma_f32 v[64:65], v[40:41], v[12:13], v[14:15] neg_lo:[0,0,1] neg_hi:[0,0,1]
	v_mov_b32_e32 v12, v11
	v_mov_b32_e32 v13, v18
	v_pk_mul_f32 v[12:13], v[50:51], v[12:13]
	ds_read2_b64 v[96:99], v202 offset0:100 offset1:149
	v_mov_b32_e32 v48, v232
	v_accvgpr_read_b32 v49, a2
	v_mov_b32_e32 v53, v234
	v_accvgpr_read_b32 v234, a235
	v_mov_b32_e32 v14, v10
	v_mov_b32_e32 v15, v19
	v_pk_fma_f32 v[62:63], v[232:233], v[10:11], v[12:13]
	s_waitcnt lgkmcnt(3)
	v_mov_b32_e32 v10, v55
	v_mov_b32_e32 v11, v24
	v_accvgpr_read_b32 v52, a234
	v_pk_fma_f32 v[66:67], v[48:49], v[14:15], v[12:13] neg_lo:[0,0,1] neg_hi:[0,0,1]
	v_pk_mul_f32 v[10:11], v[234:235], v[10:11]
	v_mov_b32_e32 v12, v54
	v_mov_b32_e32 v13, v25
	v_pk_fma_f32 v[70:71], v[52:53], v[12:13], v[10:11]
	v_pk_fma_f32 v[68:69], v[52:53], v[12:13], v[10:11] neg_lo:[0,0,1] neg_hi:[0,0,1]
	v_accvgpr_read_b32 v10, a203
	v_mov_b32_e32 v11, v79
	s_waitcnt lgkmcnt(2)
	v_mov_b32_e32 v12, v59
	s_waitcnt lgkmcnt(1)
	v_mov_b32_e32 v13, v92
	v_pk_mul_f32 v[10:11], v[10:11], v[12:13]
	v_accvgpr_read_b32 v12, a202
	v_mov_b32_e32 v13, v78
	v_mov_b32_e32 v14, v58
	;; [unrolled: 1-line block ×3, first 2 shown]
	v_pk_fma_f32 v[24:25], v[12:13], v[14:15], v[10:11]
	v_pk_fma_f32 v[22:23], v[12:13], v[14:15], v[10:11] neg_lo:[0,0,1] neg_hi:[0,0,1]
	v_mov_b32_e32 v10, v80
	v_accvgpr_read_b32 v11, a13
	v_mov_b32_e32 v12, v26
	s_waitcnt lgkmcnt(0)
	v_mov_b32_e32 v13, v96
	v_pk_mul_f32 v[10:11], v[10:11], v[12:13]
	v_mov_b32_e32 v12, v81
	v_accvgpr_read_b32 v13, a12
	v_mov_b32_e32 v14, v27
	v_mov_b32_e32 v15, v97
	v_pk_fma_f32 v[40:41], v[12:13], v[14:15], v[10:11]
	v_pk_fma_f32 v[52:53], v[12:13], v[14:15], v[10:11] neg_lo:[0,0,1] neg_hi:[0,0,1]
	v_accvgpr_read_b32 v13, a3
	v_accvgpr_read_b32 v12, a2
	;; [unrolled: 1-line block ×4, first 2 shown]
	v_mul_f32_e32 v77, v13, v19
	v_fmac_f32_e32 v77, v12, v18
	v_mov_b64_e32 v[36:37], v[10:11]
	v_accvgpr_read_b32 v10, a202
	v_accvgpr_read_b32 v13, a205
	;; [unrolled: 1-line block ×4, first 2 shown]
	v_mul_f32_e32 v39, v13, v21
	v_accvgpr_read_b32 v33, a205
	v_accvgpr_read_b32 v11, a203
	v_fmac_f32_e32 v39, v12, v20
	v_accvgpr_read_b32 v32, a204
	v_mov_b32_e32 v13, v20
	v_mov_b32_e32 v14, v79
	;; [unrolled: 1-line block ×5, first 2 shown]
	v_pk_mul_f32 v[12:13], v[14:15], v[12:13]
	v_mov_b32_e32 v14, v78
	v_mov_b32_e32 v15, v32
	v_mov_b32_e32 v10, v92
	v_pk_fma_f32 v[72:73], v[14:15], v[10:11], v[12:13] neg_lo:[0,0,1] neg_hi:[0,0,1]
	v_accvgpr_read_b32 v14, a232
	v_accvgpr_read_b32 v15, a233
	v_accvgpr_read_b32 v17, a235
	v_mul_f32_e32 v87, v15, v7
	v_accvgpr_read_b32 v16, a234
	v_fmac_f32_e32 v87, v14, v6
	v_mul_f32_e32 v6, v17, v54
	v_pk_fma_f32 v[74:75], v[78:79], v[92:93], v[12:13]
	v_fma_f32 v92, v16, v55, -v6
	v_accvgpr_read_b32 v17, a15
	v_mov_b32_e32 v11, v80
	v_accvgpr_read_b32 v80, a15
	v_mov_b32_e32 v12, v57
	v_mov_b32_e32 v13, v26
	v_accvgpr_read_b32 v16, a14
	v_accvgpr_read_b32 v15, a13
	v_mul_f32_e32 v6, v17, v56
	v_pk_mul_f32 v[12:13], v[80:81], v[12:13]
	v_accvgpr_read_b32 v14, a12
	v_mov_b32_e32 v10, v16
	v_mul_f32_e32 v79, v15, v97
	v_fma_f32 v64, v16, v57, -v6
	v_mov_b32_e32 v6, v56
	v_mov_b32_e32 v7, v27
	v_fmac_f32_e32 v79, v14, v96
	v_pk_fma_f32 v[96:97], v[10:11], v[6:7], v[12:13]
	v_pk_fma_f32 v[84:85], v[10:11], v[6:7], v[12:13] neg_lo:[0,0,1] neg_hi:[0,0,1]
	ds_read2_b64 v[10:13], v216 offset0:16 offset1:65
	v_accvgpr_read_b32 v31, a203
	v_accvgpr_read_b32 v18, a248
	v_mul_f32_e32 v6, v31, v58
	v_accvgpr_read_b32 v21, a251
	v_fma_f32 v66, v30, v59, -v6
	v_mov_b32_e32 v6, v89
	v_accvgpr_read_b32 v20, a250
	v_mov_b32_e32 v7, v21
	v_mov_b32_e32 v14, v95
	s_waitcnt lgkmcnt(0)
	v_mov_b32_e32 v15, v10
	v_accvgpr_read_b32 v19, a249
	v_pk_mul_f32 v[6:7], v[6:7], v[14:15]
	v_mov_b32_e32 v14, v88
	v_mov_b32_e32 v15, v20
	;; [unrolled: 1-line block ×4, first 2 shown]
	v_mul_f32_e32 v11, v21, v11
	v_pk_fma_f32 v[120:121], v[14:15], v[16:17], v[6:7] neg_lo:[0,0,1] neg_hi:[0,0,1]
	v_pk_fma_f32 v[6:7], v[88:89], v[94:95], v[6:7]
	v_mov_b32_e32 v17, v94
	v_mov_b32_e32 v16, v61
	v_fmac_f32_e32 v11, v20, v10
	v_mov_b32_e32 v20, v19
	v_mov_b32_e32 v21, v89
	;; [unrolled: 1-line block ×4, first 2 shown]
	v_mul_f32_e32 v7, v19, v60
	v_pk_mul_f32 v[16:17], v[20:21], v[16:17]
	v_mov_b32_e32 v19, v88
	v_pk_fma_f32 v[50:51], v[18:19], v[14:15], v[16:17]
	v_pk_fma_f32 v[48:49], v[18:19], v[14:15], v[16:17] neg_lo:[0,0,1] neg_hi:[0,0,1]
	ds_read2_b64 v[14:17], v203 offset0:190 offset1:239
	v_accvgpr_read_b32 v33, a11
	v_accvgpr_read_b32 v31, a9
	;; [unrolled: 1-line block ×3, first 2 shown]
	v_mov_b32_e32 v21, v98
	v_mov_b32_e32 v26, v90
	;; [unrolled: 1-line block ×3, first 2 shown]
	s_waitcnt lgkmcnt(0)
	v_mov_b32_e32 v20, v14
	v_fma_f32 v52, v18, v61, -v7
	v_mov_b32_e32 v19, v99
	v_pk_mul_f32 v[20:21], v[26:27], v[20:21]
	v_mov_b32_e32 v26, v91
	v_mov_b32_e32 v27, v30
	;; [unrolled: 1-line block ×3, first 2 shown]
	v_pk_fma_f32 v[56:57], v[26:27], v[18:19], v[20:21]
	v_pk_fma_f32 v[58:59], v[26:27], v[18:19], v[20:21] neg_lo:[0,0,1] neg_hi:[0,0,1]
	ds_read2_b64 v[18:21], v187 offset0:108 offset1:157
	v_mul_f32_e32 v55, v31, v99
	v_accvgpr_read_b32 v32, a10
	v_fmac_f32_e32 v55, v30, v98
	v_mov_b32_e32 v27, v90
	v_mov_b32_e32 v90, v33
	s_waitcnt lgkmcnt(0)
	v_mov_b32_e32 v30, v19
	v_mov_b32_e32 v31, v14
	v_pk_mul_f32 v[30:31], v[90:91], v[30:31]
	v_mov_b32_e32 v26, v32
	v_mov_b32_e32 v14, v18
	v_mul_f32_e32 v2, v37, v2
	v_pk_fma_f32 v[60:61], v[26:27], v[14:15], v[30:31]
	v_pk_fma_f32 v[14:15], v[26:27], v[14:15], v[30:31] neg_lo:[0,0,1] neg_hi:[0,0,1]
	v_fma_f32 v30, v36, v3, -v2
	v_mul_f32_e32 v2, v33, v18
	v_mov_b32_e32 v63, v67
	v_mov_b32_e32 v43, v65
	;; [unrolled: 1-line block ×4, first 2 shown]
	ds_read2_b64 v[98:101], v186 offset1:49
	v_fma_f32 v2, v32, v19, -v2
	v_mov_b32_e32 v31, v34
	v_mov_b32_e32 v93, v70
	v_add_f32_e32 v27, v30, v92
	v_mov_b32_e32 v76, v67
	v_mov_b32_e32 v86, v65
	v_add_f32_e32 v28, v77, v87
	v_pk_add_f32 v[32:33], v[34:35], v[70:71]
	v_mov_b32_e32 v34, v69
	v_mov_b32_e32 v35, v42
	v_pk_add_f32 v[36:37], v[62:63], v[42:43]
	v_mov_b32_e32 v42, v29
	v_mov_b32_e32 v43, v62
	v_pk_add_f32 v[18:19], v[30:31], v[92:93] neg_lo:[0,1] neg_hi:[0,1]
	v_pk_add_f32 v[30:31], v[76:77], v[86:87] neg_lo:[0,1] neg_hi:[0,1]
	;; [unrolled: 1-line block ×3, first 2 shown]
	v_mov_b32_e32 v42, v36
	v_mov_b32_e32 v43, v27
	;; [unrolled: 1-line block ×6, first 2 shown]
	v_pk_add_f32 v[42:43], v[42:43], v[44:45] neg_lo:[0,1] neg_hi:[0,1]
	v_mov_b32_e32 v44, v34
	v_mov_b32_e32 v45, v19
	;; [unrolled: 1-line block ×4, first 2 shown]
	v_pk_add_f32 v[94:95], v[32:33], v[36:37] neg_lo:[0,1] neg_hi:[0,1]
	v_mov_b32_e32 v37, v33
	v_pk_add_f32 v[32:33], v[28:29], v[26:27]
	v_pk_add_f32 v[46:47], v[44:45], v[46:47] neg_lo:[0,1] neg_hi:[0,1]
	v_mov_b32_e32 v44, v18
	v_mov_b32_e32 v45, v35
	v_pk_add_f32 v[62:63], v[34:35], v[30:31]
	v_mov_b32_e32 v35, v31
	v_pk_add_f32 v[32:33], v[36:37], v[32:33]
	v_pk_add_f32 v[92:93], v[44:45], v[34:35] neg_lo:[0,1] neg_hi:[0,1]
	v_pk_mul_f32 v[44:45], v[42:43], s[8:9]
	v_pk_mul_f32 v[42:43], v[46:47], s[18:19]
	s_waitcnt lgkmcnt(0)
	v_pk_add_f32 v[76:77], v[32:33], v[98:99]
	v_pk_add_f32 v[36:37], v[62:63], v[18:19]
	v_pk_fma_f32 v[86:87], v[32:33], s[16:17], v[76:77] op_sel_hi:[1,0,1] neg_lo:[1,0,0] neg_hi:[1,0,0]
	v_pk_fma_f32 v[32:33], v[94:95], s[14:15], v[44:45]
	v_pk_fma_f32 v[34:35], v[92:93], s[12:13], v[42:43]
	v_mov_b32_e32 v75, v73
	v_mov_b32_e32 v38, v73
	;; [unrolled: 1-line block ×6, first 2 shown]
	v_pk_add_f32 v[32:33], v[32:33], v[86:87]
	v_pk_fma_f32 v[46:47], v[36:37], s[10:11], v[34:35] op_sel_hi:[1,0,1]
	v_mov_b32_e32 v67, v24
	v_mov_b32_e32 v65, v96
	v_add_f32_e32 v69, v66, v64
	v_add_f32_e32 v72, v39, v79
	v_pk_add_f32 v[70:71], v[38:39], v[78:79] neg_lo:[0,1] neg_hi:[0,1]
	v_pk_add_f32 v[24:25], v[24:25], v[96:97]
	v_mov_b32_e32 v38, v85
	v_mov_b32_e32 v39, v40
	v_pk_add_f32 v[40:41], v[74:75], v[40:41]
	v_mov_b32_e32 v22, v23
	v_mov_b32_e32 v23, v74
	v_pk_add_f32 v[34:35], v[32:33], v[46:47]
	v_pk_add_f32 v[32:33], v[32:33], v[46:47] neg_lo:[0,1] neg_hi:[0,1]
	v_pk_add_f32 v[66:67], v[66:67], v[64:65] neg_lo:[0,1] neg_hi:[0,1]
	;; [unrolled: 1-line block ×3, first 2 shown]
	v_mov_b32_e32 v38, v40
	v_mov_b32_e32 v39, v69
	;; [unrolled: 1-line block ×4, first 2 shown]
	v_pk_add_f32 v[74:75], v[38:39], v[46:47] neg_lo:[0,1] neg_hi:[0,1]
	v_mov_b32_e32 v38, v22
	v_mov_b32_e32 v39, v67
	;; [unrolled: 1-line block ×4, first 2 shown]
	v_pk_add_f32 v[78:79], v[38:39], v[46:47] neg_lo:[0,1] neg_hi:[0,1]
	v_mov_b32_e32 v38, v66
	v_mov_b32_e32 v39, v23
	v_pk_add_f32 v[84:85], v[22:23], v[70:71]
	v_mov_b32_e32 v23, v71
	v_mov_b32_e32 v73, v41
	;; [unrolled: 1-line block ×3, first 2 shown]
	v_pk_add_f32 v[62:63], v[38:39], v[22:23] neg_lo:[0,1] neg_hi:[0,1]
	v_pk_add_f32 v[64:65], v[24:25], v[40:41] neg_lo:[0,1] neg_hi:[0,1]
	v_mov_b32_e32 v41, v25
	v_pk_add_f32 v[22:23], v[72:73], v[68:69]
	v_pk_mul_f32 v[24:25], v[94:95], s[14:15]
	v_pk_add_f32 v[96:97], v[40:41], v[22:23]
	v_mov_b32_e32 v22, v34
	v_mov_b32_e32 v23, v33
	ds_write_b64 v186, v[22:23] offset:2744
	v_pk_add_f32 v[22:23], v[28:29], v[26:27] neg_lo:[0,1] neg_hi:[0,1]
	v_pk_mul_f32 v[26:27], v[92:93], s[12:13]
	v_pk_add_f32 v[18:19], v[30:31], v[18:19] neg_lo:[0,1] neg_hi:[0,1]
	v_mov_b32_e32 v28, v24
	v_mov_b32_e32 v29, v45
	;; [unrolled: 1-line block ×6, first 2 shown]
	v_pk_fma_f32 v[28:29], v[22:23], s[2:3], v[28:29] op_sel_hi:[1,0,1] neg_lo:[1,0,1] neg_hi:[1,0,1]
	v_pk_fma_f32 v[30:31], v[18:19], s[6:7], v[30:31] op_sel_hi:[1,0,1] neg_lo:[1,0,1] neg_hi:[1,0,1]
	;; [unrolled: 1-line block ×4, first 2 shown]
	v_mov_b32_e32 v53, v50
	v_mov_b32_e32 v3, v60
	;; [unrolled: 1-line block ×6, first 2 shown]
	v_pk_add_f32 v[28:29], v[28:29], v[86:87]
	v_pk_fma_f32 v[30:31], v[36:37], s[10:11], v[30:31] op_sel_hi:[1,0,1]
	v_pk_add_f32 v[22:23], v[22:23], v[86:87]
	v_pk_fma_f32 v[18:19], v[36:37], s[10:11], v[18:19] op_sel_hi:[1,0,1]
	v_add_f32_e32 v81, v52, v2
	v_pk_add_f32 v[82:83], v[52:53], v[2:3] neg_lo:[0,1] neg_hi:[0,1]
	v_mov_b32_e32 v10, v121
	v_mov_b32_e32 v54, v59
	v_add_f32_e32 v14, v11, v55
	v_pk_add_f32 v[2:3], v[50:51], v[60:61]
	v_mov_b32_e32 v46, v15
	v_mov_b32_e32 v47, v56
	v_pk_add_f32 v[50:51], v[6:7], v[56:57]
	v_mov_b32_e32 v48, v49
	v_mov_b32_e32 v49, v6
	v_pk_add_f32 v[38:39], v[28:29], v[30:31]
	v_pk_add_f32 v[30:31], v[28:29], v[30:31] neg_lo:[0,1] neg_hi:[0,1]
	v_pk_add_f32 v[24:25], v[22:23], v[18:19] neg_lo:[0,1] neg_hi:[0,1]
	v_pk_add_f32 v[18:19], v[22:23], v[18:19]
	v_pk_add_f32 v[10:11], v[10:11], v[54:55] neg_lo:[0,1] neg_hi:[0,1]
	v_pk_add_f32 v[6:7], v[46:47], v[48:49] neg_lo:[0,1] neg_hi:[0,1]
	v_mov_b32_e32 v46, v50
	v_mov_b32_e32 v47, v81
	;; [unrolled: 1-line block ×4, first 2 shown]
	v_pk_add_f32 v[98:99], v[96:97], v[100:101]
	v_mov_b32_e32 v28, v38
	v_mov_b32_e32 v29, v31
	;; [unrolled: 1-line block ×7, first 2 shown]
	v_pk_add_f32 v[94:95], v[46:47], v[48:49] neg_lo:[0,1] neg_hi:[0,1]
	v_mov_b32_e32 v46, v6
	v_mov_b32_e32 v47, v83
	;; [unrolled: 1-line block ×4, first 2 shown]
	ds_write_b64 v186, v[28:29] offset:5488
	ds_write_b64 v186, v[22:23] offset:8232
	;; [unrolled: 1-line block ×3, first 2 shown]
	ds_read2_b64 v[26:29], v186 offset0:98 offset1:147
	ds_write_b64 v186, v[30:31] offset:13720
	ds_write_b64 v186, v[32:33] offset:16464
	v_pk_fma_f32 v[18:19], v[96:97], s[16:17], v[98:99] op_sel_hi:[1,0,1] neg_lo:[1,0,0] neg_hi:[1,0,0]
	v_pk_add_f32 v[96:97], v[46:47], v[48:49] neg_lo:[0,1] neg_hi:[0,1]
	v_mov_b32_e32 v46, v82
	v_mov_b32_e32 v47, v7
	v_pk_add_f32 v[48:49], v[6:7], v[10:11]
	v_mov_b32_e32 v7, v11
	v_mov_b32_e32 v15, v51
	;; [unrolled: 1-line block ×3, first 2 shown]
	ds_read2_b64 v[100:103], v178 offset0:106 offset1:155
	ds_read2_b64 v[104:107], v217 offset0:152 offset1:201
	;; [unrolled: 1-line block ×3, first 2 shown]
	ds_read_b64 v[86:87], v186 offset:18816
	ds_read2_b64 v[112:115], v188 offset0:70 offset1:119
	ds_read2_b64 v[22:25], v186 offset0:196 offset1:245
	;; [unrolled: 1-line block ×7, first 2 shown]
	ds_write2_b64 v186, v[76:77], v[98:99] offset1:49
	v_pk_add_f32 v[76:77], v[46:47], v[6:7] neg_lo:[0,1] neg_hi:[0,1]
	v_pk_add_f32 v[92:93], v[2:3], v[50:51] neg_lo:[0,1] neg_hi:[0,1]
	v_mov_b32_e32 v51, v3
	v_pk_add_f32 v[2:3], v[14:15], v[80:81]
	v_pk_add_f32 v[46:47], v[84:85], v[66:67]
	v_pk_add_f32 v[52:53], v[70:71], v[66:67] neg_lo:[0,1] neg_hi:[0,1]
	v_pk_mul_f32 v[56:57], v[74:75], s[8:9]
	v_pk_mul_f32 v[54:55], v[78:79], s[18:19]
	;; [unrolled: 1-line block ×4, first 2 shown]
	v_pk_add_f32 v[98:99], v[50:51], v[2:3]
	v_pk_add_f32 v[50:51], v[72:73], v[68:69] neg_lo:[0,1] neg_hi:[0,1]
	v_mov_b32_e32 v2, v60
	v_mov_b32_e32 v3, v57
	;; [unrolled: 1-line block ×4, first 2 shown]
	v_pk_fma_f32 v[2:3], v[50:51], s[2:3], v[2:3] op_sel_hi:[1,0,1] neg_lo:[1,0,1] neg_hi:[1,0,1]
	v_pk_fma_f32 v[6:7], v[52:53], s[6:7], v[6:7] op_sel_hi:[1,0,1] neg_lo:[1,0,1] neg_hi:[1,0,1]
	v_pk_add_f32 v[2:3], v[2:3], v[18:19]
	v_pk_fma_f32 v[6:7], v[46:47], s[10:11], v[6:7] op_sel_hi:[1,0,1]
	v_pk_mul_f32 v[74:75], v[94:95], s[8:9]
	v_pk_mul_f32 v[72:73], v[96:97], s[18:19]
	;; [unrolled: 1-line block ×4, first 2 shown]
	v_pk_add_f32 v[58:59], v[2:3], v[6:7]
	v_pk_add_f32 v[2:3], v[2:3], v[6:7] neg_lo:[0,1] neg_hi:[0,1]
	v_pk_add_f32 v[70:71], v[14:15], v[80:81] neg_lo:[0,1] neg_hi:[0,1]
	;; [unrolled: 1-line block ×3, first 2 shown]
	s_waitcnt lgkmcnt(14)
	v_pk_add_f32 v[6:7], v[98:99], v[26:27]
	v_mov_b32_e32 v10, v78
	v_mov_b32_e32 v11, v75
	;; [unrolled: 1-line block ×4, first 2 shown]
	v_pk_add_f32 v[48:49], v[48:49], v[82:83]
	v_pk_fma_f32 v[26:27], v[98:99], s[16:17], v[6:7] op_sel_hi:[1,0,1] neg_lo:[1,0,0] neg_hi:[1,0,0]
	v_pk_fma_f32 v[10:11], v[70:71], s[2:3], v[10:11] op_sel_hi:[1,0,1] neg_lo:[1,0,1] neg_hi:[1,0,1]
	;; [unrolled: 1-line block ×3, first 2 shown]
	v_pk_add_f32 v[80:81], v[10:11], v[26:27]
	v_pk_fma_f32 v[14:15], v[48:49], s[10:11], v[14:15] op_sel_hi:[1,0,1]
	v_accvgpr_read_b32 v124, a210
	v_pk_add_f32 v[10:11], v[80:81], v[14:15]
	v_pk_add_f32 v[14:15], v[80:81], v[14:15] neg_lo:[0,1] neg_hi:[0,1]
	v_mov_b32_e32 v80, v58
	v_mov_b32_e32 v81, v3
	;; [unrolled: 1-line block ×4, first 2 shown]
	v_accvgpr_read_b32 v3, a189
	v_accvgpr_read_b32 v125, a211
	ds_write2_b64 v3, v[80:81], v[82:83] offset0:95 offset1:144
	v_accvgpr_read_b32 v80, a169
	v_mov_b32_e32 v81, v125
	s_waitcnt lgkmcnt(12)
	v_mov_b32_e32 v82, v101
	s_waitcnt lgkmcnt(11)
	v_mov_b32_e32 v83, v104
	v_accvgpr_read_b32 v126, a212
	v_pk_mul_f32 v[80:81], v[80:81], v[82:83]
	v_accvgpr_read_b32 v82, a168
	v_mov_b32_e32 v83, v124
	v_mov_b32_e32 v94, v100
	;; [unrolled: 1-line block ×3, first 2 shown]
	v_accvgpr_read_b32 v127, a213
	v_pk_fma_f32 v[96:97], v[82:83], v[94:95], v[80:81]
	v_pk_fma_f32 v[80:81], v[82:83], v[94:95], v[80:81] neg_lo:[0,0,1] neg_hi:[0,0,1]
	v_mov_b32_e32 v82, v126
	v_accvgpr_read_b32 v83, a215
	v_mov_b32_e32 v94, v16
	s_waitcnt lgkmcnt(8)
	v_mov_b32_e32 v95, v112
	v_accvgpr_read_b32 v88, a168
	v_pk_mul_f32 v[82:83], v[82:83], v[94:95]
	v_mov_b32_e32 v94, v127
	v_accvgpr_read_b32 v95, a214
	v_mov_b32_e32 v98, v17
	v_mov_b32_e32 v99, v113
	v_accvgpr_read_b32 v91, a171
	v_pk_fma_f32 v[120:121], v[94:95], v[98:99], v[82:83]
	v_pk_fma_f32 v[82:83], v[94:95], v[98:99], v[82:83] neg_lo:[0,0,1] neg_hi:[0,0,1]
	v_accvgpr_read_b32 v90, a170
	v_mul_f32_e32 v95, v91, v13
	v_mov_b32_e32 v99, v12
	v_mov_b32_e32 v122, v125
	;; [unrolled: 1-line block ×4, first 2 shown]
	v_fmac_f32_e32 v95, v90, v12
	v_pk_mul_f32 v[98:99], v[122:123], v[98:99]
	v_mov_b32_e32 v122, v124
	v_mov_b32_e32 v123, v90
	;; [unrolled: 1-line block ×3, first 2 shown]
	v_pk_fma_f32 v[122:123], v[122:123], v[12:13], v[98:99] neg_lo:[0,0,1] neg_hi:[0,0,1]
	v_mov_b32_e32 v13, v126
	v_accvgpr_read_b32 v126, a217
	v_pk_fma_f32 v[98:99], v[124:125], v[104:105], v[98:99]
	v_mov_b32_e32 v104, v21
	v_mov_b32_e32 v105, v16
	v_pk_mul_f32 v[104:105], v[126:127], v[104:105]
	v_accvgpr_read_b32 v124, a214
	v_accvgpr_read_b32 v127, a217
	;; [unrolled: 1-line block ×4, first 2 shown]
	v_mul_f32_e32 v3, v127, v20
	v_mov_b32_e32 v12, v126
	v_fma_f32 v126, v126, v21, -v3
	v_mul_f32_e32 v3, v89, v100
	v_mov_b32_e32 v16, v20
	v_fma_f32 v20, v88, v101, -v3
	v_accvgpr_read_b32 v88, a134
	v_accvgpr_read_b32 v91, a137
	v_pk_fma_f32 v[128:129], v[12:13], v[16:17], v[104:105]
	v_pk_fma_f32 v[104:105], v[12:13], v[16:17], v[104:105] neg_lo:[0,0,1] neg_hi:[0,0,1]
	v_mov_b32_e32 v12, v133
	v_accvgpr_read_b32 v89, a135
	v_accvgpr_read_b32 v90, a136
	v_mov_b32_e32 v13, v91
	v_mov_b32_e32 v16, v107
	s_waitcnt lgkmcnt(6)
	v_mov_b32_e32 v17, v116
	v_pk_mul_f32 v[12:13], v[12:13], v[16:17]
	v_mov_b32_e32 v16, v132
	v_mov_b32_e32 v17, v90
	;; [unrolled: 1-line block ×4, first 2 shown]
	v_mul_f32_e32 v3, v89, v102
	v_pk_fma_f32 v[100:101], v[16:17], v[100:101], v[12:13] neg_lo:[0,0,1] neg_hi:[0,0,1]
	v_mov_b32_e32 v16, v103
	v_fma_f32 v82, v88, v103, -v3
	v_mul_f32_e32 v103, v91, v117
	v_accvgpr_read_b32 v136, a206
	v_mov_b32_e32 v17, v106
	v_fmac_f32_e32 v103, v90, v116
	v_mov_b32_e32 v116, v89
	v_mov_b32_e32 v117, v133
	v_accvgpr_read_b32 v137, a207
	v_pk_fma_f32 v[130:131], v[132:133], v[106:107], v[12:13]
	v_mov_b32_e32 v13, v107
	v_mov_b32_e32 v12, v102
	;; [unrolled: 1-line block ×3, first 2 shown]
	v_pk_mul_f32 v[16:17], v[116:117], v[16:17]
	v_mov_b32_e32 v107, v132
	v_mul_f32_e32 v117, v137, v115
	v_pk_fma_f32 v[88:89], v[106:107], v[12:13], v[16:17]
	v_pk_fma_f32 v[106:107], v[106:107], v[12:13], v[16:17] neg_lo:[0,0,1] neg_hi:[0,0,1]
	v_fmac_f32_e32 v117, v136, v114
	v_mov_b32_e32 v13, v115
	v_mov_b32_e32 v17, v114
	;; [unrolled: 1-line block ×5, first 2 shown]
	v_accvgpr_read_b32 v139, a209
	v_pk_mul_f32 v[16:17], v[114:115], v[16:17]
	v_mov_b32_e32 v114, v135
	v_mov_b32_e32 v115, v136
	;; [unrolled: 1-line block ×3, first 2 shown]
	v_accvgpr_read_b32 v138, a208
	v_pk_fma_f32 v[136:137], v[114:115], v[12:13], v[16:17]
	v_pk_fma_f32 v[114:115], v[114:115], v[12:13], v[16:17] neg_lo:[0,0,1] neg_hi:[0,0,1]
	v_mov_b32_e32 v13, v134
	v_mov_b32_e32 v134, v139
	s_waitcnt lgkmcnt(5)
	v_mov_b32_e32 v16, v43
	v_mov_b32_e32 v17, v108
	v_accvgpr_read_b32 v156, a224
	v_accvgpr_read_b32 v125, a215
	v_pk_mul_f32 v[16:17], v[134:135], v[16:17]
	v_mov_b32_e32 v12, v138
	v_mov_b32_e32 v90, v42
	;; [unrolled: 1-line block ×3, first 2 shown]
	v_accvgpr_read_b32 v157, a225
	v_mul_f32_e32 v113, v125, v113
	v_pk_fma_f32 v[108:109], v[12:13], v[90:91], v[16:17]
	v_pk_fma_f32 v[90:91], v[12:13], v[90:91], v[16:17] neg_lo:[0,0,1] neg_hi:[0,0,1]
	v_accvgpr_read_b32 v12, a165
	v_mov_b32_e32 v13, v157
	s_waitcnt lgkmcnt(4)
	v_mov_b32_e32 v16, v39
	s_waitcnt lgkmcnt(3)
	v_mov_b32_e32 v17, v34
	v_fmac_f32_e32 v113, v124, v112
	v_accvgpr_read_b32 v158, a226
	v_pk_mul_f32 v[12:13], v[12:13], v[16:17]
	v_accvgpr_read_b32 v16, a164
	v_mov_b32_e32 v17, v156
	v_mov_b32_e32 v124, v38
	;; [unrolled: 1-line block ×3, first 2 shown]
	v_accvgpr_read_b32 v132, a164
	v_accvgpr_read_b32 v159, a227
	v_pk_fma_f32 v[146:147], v[16:17], v[124:125], v[12:13]
	v_pk_fma_f32 v[148:149], v[16:17], v[124:125], v[12:13] neg_lo:[0,0,1] neg_hi:[0,0,1]
	v_mov_b32_e32 v12, v158
	v_accvgpr_read_b32 v13, a221
	v_mov_b32_e32 v16, v110
	s_waitcnt lgkmcnt(2)
	v_mov_b32_e32 v17, v30
	v_accvgpr_read_b32 v135, a167
	v_accvgpr_read_b32 v140, a220
	v_pk_mul_f32 v[12:13], v[12:13], v[16:17]
	v_mov_b32_e32 v16, v159
	v_accvgpr_read_b32 v17, a220
	v_mov_b32_e32 v124, v111
	v_mov_b32_e32 v125, v31
	v_accvgpr_read_b32 v134, a166
	v_mul_f32_e32 v155, v135, v119
	v_accvgpr_read_b32 v141, a221
	v_pk_fma_f32 v[150:151], v[16:17], v[124:125], v[12:13]
	v_pk_fma_f32 v[152:153], v[16:17], v[124:125], v[12:13] neg_lo:[0,0,1] neg_hi:[0,0,1]
	v_fmac_f32_e32 v155, v134, v118
	v_mov_b32_e32 v13, v119
	v_mov_b32_e32 v17, v118
	;; [unrolled: 1-line block ×5, first 2 shown]
	v_mul_f32_e32 v3, v139, v42
	v_mul_f32_e32 v135, v141, v31
	v_accvgpr_read_b32 v133, a165
	v_pk_mul_f32 v[16:17], v[118:119], v[16:17]
	v_mov_b32_e32 v118, v156
	v_mov_b32_e32 v119, v134
	;; [unrolled: 1-line block ×3, first 2 shown]
	v_accvgpr_read_b32 v143, a223
	v_fma_f32 v42, v138, v43, -v3
	v_fmac_f32_e32 v135, v140, v30
	v_accvgpr_read_b32 v138, a142
	v_mov_b64_e32 v[124:125], v[132:133]
	v_pk_fma_f32 v[118:119], v[118:119], v[12:13], v[16:17] neg_lo:[0,0,1] neg_hi:[0,0,1]
	v_mov_b32_e32 v13, v158
	v_accvgpr_read_b32 v142, a222
	v_mov_b32_e32 v158, v143
	v_pk_fma_f32 v[132:133], v[156:157], v[34:35], v[16:17]
	v_mov_b32_e32 v16, v45
	v_mov_b32_e32 v17, v110
	v_accvgpr_read_b32 v141, a145
	v_pk_mul_f32 v[16:17], v[158:159], v[16:17]
	v_mov_b32_e32 v12, v142
	v_mov_b32_e32 v30, v44
	;; [unrolled: 1-line block ×3, first 2 shown]
	v_accvgpr_read_b32 v140, a144
	v_mul_f32_e32 v159, v141, v9
	v_pk_fma_f32 v[110:111], v[12:13], v[30:31], v[16:17]
	v_pk_fma_f32 v[156:157], v[12:13], v[30:31], v[16:17] neg_lo:[0,0,1] neg_hi:[0,0,1]
	v_fmac_f32_e32 v159, v140, v8
	v_mov_b32_e32 v13, v8
	v_mov_b32_e32 v17, v140
	;; [unrolled: 1-line block ×4, first 2 shown]
	v_accvgpr_read_b32 v139, a143
	v_mov_b32_e32 v16, v168
	v_mov_b32_e32 v8, v36
	v_pk_mul_f32 v[12:13], v[140:141], v[12:13]
	v_mul_f32_e32 v3, v143, v44
	v_pk_fma_f32 v[160:161], v[16:17], v[8:9], v[12:13] neg_lo:[0,0,1] neg_hi:[0,0,1]
	v_pk_fma_f32 v[162:163], v[168:169], v[36:37], v[12:13]
	v_mov_b32_e32 v9, v168
	v_mov_b32_e32 v168, v139
	;; [unrolled: 1-line block ×7, first 2 shown]
	v_pk_mul_f32 v[16:17], v[168:169], v[16:17]
	v_mul_f32_e32 v169, v237, v33
	v_fma_f32 v106, v142, v45, -v3
	v_mul_f32_e32 v3, v125, v38
	v_pk_fma_f32 v[164:165], v[8:9], v[12:13], v[16:17]
	v_pk_fma_f32 v[166:167], v[8:9], v[12:13], v[16:17] neg_lo:[0,0,1] neg_hi:[0,0,1]
	v_fmac_f32_e32 v169, v236, v32
	v_mov_b32_e32 v13, v32
	v_mov_b32_e32 v17, v236
	;; [unrolled: 1-line block ×4, first 2 shown]
	v_fma_f32 v114, v124, v39, -v3
	v_mul_f32_e32 v3, v139, v40
	v_mov_b32_e32 v9, v33
	v_mov_b32_e32 v16, v171
	;; [unrolled: 1-line block ×3, first 2 shown]
	v_pk_mul_f32 v[12:13], v[236:237], v[12:13]
	v_fma_f32 v122, v138, v41, -v3
	v_pk_fma_f32 v[172:173], v[16:17], v[8:9], v[12:13]
	v_pk_fma_f32 v[174:175], v[16:17], v[8:9], v[12:13] neg_lo:[0,0,1] neg_hi:[0,0,1]
	v_mov_b32_e32 v9, v170
	v_mov_b32_e32 v170, v239
	;; [unrolled: 1-line block ×4, first 2 shown]
	v_mul_f32_e32 v3, v239, v86
	v_pk_mul_f32 v[12:13], v[170:171], v[12:13]
	v_mov_b32_e32 v8, v238
	v_fma_f32 v152, v238, v87, -v3
	v_mov_b32_e32 v87, v5
	v_pk_fma_f32 v[170:171], v[8:9], v[86:87], v[12:13]
	v_pk_fma_f32 v[176:177], v[8:9], v[86:87], v[12:13] neg_lo:[0,0,1] neg_hi:[0,0,1]
	v_pk_fma_f32 v[4:5], v[64:65], s[14:15], v[56:57]
	v_pk_fma_f32 v[8:9], v[62:63], s[12:13], v[54:55]
	v_pk_add_f32 v[4:5], v[4:5], v[18:19]
	v_pk_fma_f32 v[8:9], v[46:47], s[10:11], v[8:9] op_sel_hi:[1,0,1]
	v_pk_fma_f32 v[12:13], v[76:77], s[12:13], v[72:73]
	v_pk_add_f32 v[124:125], v[4:5], v[8:9]
	v_pk_add_f32 v[8:9], v[4:5], v[8:9] neg_lo:[0,1] neg_hi:[0,1]
	v_pk_fma_f32 v[4:5], v[92:93], s[14:15], v[74:75]
	v_pk_fma_f32 v[16:17], v[48:49], s[10:11], v[12:13] op_sel_hi:[1,0,1]
	v_pk_add_f32 v[4:5], v[4:5], v[26:27]
	v_mov_b32_e32 v99, v123
	v_pk_add_f32 v[12:13], v[4:5], v[16:17]
	v_pk_add_f32 v[16:17], v[4:5], v[16:17] neg_lo:[0,1] neg_hi:[0,1]
	v_mov_b32_e32 v4, v124
	v_mov_b32_e32 v5, v9
	;; [unrolled: 1-line block ×7, first 2 shown]
	ds_write2_b64 v225, v[4:5], v[30:31] offset0:136 offset1:185
	v_mov_b32_e32 v21, v96
	v_mov_b32_e32 v127, v128
	v_add_f32_e32 v31, v20, v126
	v_mov_b32_e32 v94, v123
	v_mov_b32_e32 v112, v83
	v_add_f32_e32 v34, v95, v113
	v_pk_add_f32 v[4:5], v[96:97], v[128:129]
	v_mov_b32_e32 v36, v105
	v_mov_b32_e32 v37, v120
	v_pk_add_f32 v[38:39], v[98:99], v[120:121]
	v_mov_b32_e32 v40, v81
	v_mov_b32_e32 v41, v98
	v_pk_add_f32 v[20:21], v[20:21], v[126:127] neg_lo:[0,1] neg_hi:[0,1]
	v_pk_add_f32 v[32:33], v[94:95], v[112:113] neg_lo:[0,1] neg_hi:[0,1]
	;; [unrolled: 1-line block ×3, first 2 shown]
	v_mov_b32_e32 v40, v38
	v_mov_b32_e32 v41, v31
	;; [unrolled: 1-line block ×6, first 2 shown]
	v_pk_add_f32 v[44:45], v[40:41], v[44:45] neg_lo:[0,1] neg_hi:[0,1]
	v_mov_b32_e32 v40, v36
	v_mov_b32_e32 v41, v21
	;; [unrolled: 1-line block ×4, first 2 shown]
	v_pk_add_f32 v[140:141], v[4:5], v[38:39] neg_lo:[0,1] neg_hi:[0,1]
	v_mov_b32_e32 v39, v5
	v_pk_add_f32 v[4:5], v[34:35], v[30:31]
	v_pk_add_f32 v[62:63], v[40:41], v[62:63] neg_lo:[0,1] neg_hi:[0,1]
	v_mov_b32_e32 v40, v20
	v_mov_b32_e32 v41, v37
	v_pk_add_f32 v[64:65], v[36:37], v[32:33]
	v_mov_b32_e32 v37, v33
	v_pk_add_f32 v[4:5], v[38:39], v[4:5]
	v_pk_add_f32 v[138:139], v[40:41], v[36:37] neg_lo:[0,1] neg_hi:[0,1]
	v_pk_add_f32 v[104:105], v[4:5], v[28:29]
	v_pk_add_f32 v[40:41], v[64:65], v[20:21]
	v_pk_mul_f32 v[80:81], v[44:45], s[8:9]
	v_pk_mul_f32 v[64:65], v[62:63], s[18:19]
	v_pk_fma_f32 v[44:45], v[4:5], s[16:17], v[104:105] op_sel_hi:[1,0,1] neg_lo:[1,0,0] neg_hi:[1,0,0]
	v_pk_fma_f32 v[4:5], v[140:141], s[14:15], v[80:81]
	v_pk_fma_f32 v[28:29], v[138:139], s[12:13], v[64:65]
	v_pk_add_f32 v[4:5], v[4:5], v[44:45]
	v_pk_fma_f32 v[36:37], v[40:41], s[10:11], v[28:29] op_sel_hi:[1,0,1]
	v_mov_b32_e32 v83, v88
	v_mov_b32_e32 v43, v108
	;; [unrolled: 1-line block ×6, first 2 shown]
	v_pk_add_f32 v[28:29], v[4:5], v[36:37]
	v_pk_add_f32 v[4:5], v[4:5], v[36:37] neg_lo:[0,1] neg_hi:[0,1]
	v_add_f32_e32 v39, v82, v42
	v_pk_add_f32 v[36:37], v[82:83], v[42:43] neg_lo:[0,1] neg_hi:[0,1]
	v_mov_b32_e32 v102, v101
	v_mov_b32_e32 v116, v115
	v_add_f32_e32 v76, v103, v117
	v_pk_add_f32 v[42:43], v[88:89], v[108:109]
	v_mov_b32_e32 v82, v91
	v_mov_b32_e32 v83, v136
	v_pk_add_f32 v[86:87], v[130:131], v[136:137]
	v_mov_b32_e32 v88, v107
	v_mov_b32_e32 v89, v130
	v_pk_add_f32 v[62:63], v[102:103], v[116:117] neg_lo:[0,1] neg_hi:[0,1]
	v_pk_add_f32 v[82:83], v[82:83], v[88:89] neg_lo:[0,1] neg_hi:[0,1]
	v_mov_b32_e32 v88, v86
	v_mov_b32_e32 v89, v39
	v_mov_b32_e32 v90, v76
	v_mov_b32_e32 v91, v43
	v_pk_add_f32 v[88:89], v[88:89], v[90:91] neg_lo:[0,1] neg_hi:[0,1]
	v_mov_b32_e32 v90, v82
	v_mov_b32_e32 v91, v37
	;; [unrolled: 1-line block ×6, first 2 shown]
	v_pk_add_f32 v[90:91], v[90:91], v[92:93] neg_lo:[0,1] neg_hi:[0,1]
	v_mov_b32_e32 v92, v36
	v_pk_add_f32 v[94:95], v[82:83], v[62:63]
	v_mov_b32_e32 v83, v63
	v_pk_add_f32 v[144:145], v[42:43], v[86:87] neg_lo:[0,1] neg_hi:[0,1]
	v_mov_b32_e32 v87, v43
	v_pk_add_f32 v[42:43], v[76:77], v[38:39]
	v_pk_add_f32 v[142:143], v[92:93], v[82:83] neg_lo:[0,1] neg_hi:[0,1]
	v_pk_add_f32 v[82:83], v[86:87], v[42:43]
	v_pk_mul_f32 v[102:103], v[88:89], s[8:9]
	v_pk_mul_f32 v[98:99], v[90:91], s[18:19]
	v_pk_add_f32 v[42:43], v[82:83], v[22:23]
	v_pk_add_f32 v[92:93], v[94:95], v[36:37]
	v_pk_fma_f32 v[100:101], v[82:83], s[16:17], v[42:43] op_sel_hi:[1,0,1] neg_lo:[1,0,0] neg_hi:[1,0,0]
	v_pk_fma_f32 v[22:23], v[144:145], s[14:15], v[102:103]
	v_pk_fma_f32 v[82:83], v[142:143], s[12:13], v[98:99]
	v_pk_add_f32 v[22:23], v[22:23], v[100:101]
	v_pk_fma_f32 v[82:83], v[92:93], s[10:11], v[82:83] op_sel_hi:[1,0,1]
	v_mov_b32_e32 v115, v146
	v_mov_b32_e32 v107, v110
	;; [unrolled: 1-line block ×6, first 2 shown]
	v_pk_add_f32 v[88:89], v[22:23], v[82:83]
	v_pk_add_f32 v[90:91], v[22:23], v[82:83] neg_lo:[0,1] neg_hi:[0,1]
	v_add_f32_e32 v87, v114, v106
	v_pk_add_f32 v[82:83], v[114:115], v[106:107] neg_lo:[0,1] neg_hi:[0,1]
	v_mov_b32_e32 v154, v119
	v_mov_b32_e32 v134, v153
	v_add_f32_e32 v96, v155, v135
	v_pk_add_f32 v[22:23], v[146:147], v[110:111]
	v_mov_b32_e32 v106, v157
	v_mov_b32_e32 v107, v150
	v_pk_add_f32 v[108:109], v[132:133], v[150:151]
	v_mov_b32_e32 v110, v149
	v_mov_b32_e32 v111, v132
	v_pk_add_f32 v[94:95], v[154:155], v[134:135] neg_lo:[0,1] neg_hi:[0,1]
	v_pk_add_f32 v[106:107], v[106:107], v[110:111] neg_lo:[0,1] neg_hi:[0,1]
	v_mov_b32_e32 v110, v108
	v_mov_b32_e32 v111, v87
	v_mov_b32_e32 v112, v96
	v_mov_b32_e32 v113, v23
	v_mov_b32_e32 v97, v109
	v_mov_b32_e32 v86, v22
	v_pk_add_f32 v[112:113], v[110:111], v[112:113] neg_lo:[0,1] neg_hi:[0,1]
	v_mov_b32_e32 v110, v106
	v_mov_b32_e32 v111, v83
	;; [unrolled: 1-line block ×4, first 2 shown]
	v_pk_add_f32 v[148:149], v[22:23], v[108:109] neg_lo:[0,1] neg_hi:[0,1]
	v_mov_b32_e32 v109, v23
	v_pk_add_f32 v[22:23], v[96:97], v[86:87]
	v_pk_add_f32 v[114:115], v[110:111], v[114:115] neg_lo:[0,1] neg_hi:[0,1]
	v_mov_b32_e32 v110, v82
	v_mov_b32_e32 v111, v107
	v_pk_add_f32 v[116:117], v[106:107], v[94:95]
	v_mov_b32_e32 v107, v95
	v_pk_add_f32 v[22:23], v[108:109], v[22:23]
	v_pk_add_f32 v[146:147], v[110:111], v[106:107] neg_lo:[0,1] neg_hi:[0,1]
	v_pk_add_f32 v[134:135], v[22:23], v[24:25]
	v_pk_mul_f32 v[120:121], v[112:113], s[8:9]
	v_pk_mul_f32 v[118:119], v[114:115], s[18:19]
	v_pk_add_f32 v[110:111], v[116:117], v[82:83]
	v_pk_fma_f32 v[116:117], v[22:23], s[16:17], v[134:135] op_sel_hi:[1,0,1] neg_lo:[1,0,0] neg_hi:[1,0,0]
	v_pk_fma_f32 v[22:23], v[148:149], s[14:15], v[120:121]
	v_pk_fma_f32 v[24:25], v[146:147], s[12:13], v[118:119]
	v_pk_add_f32 v[22:23], v[22:23], v[116:117]
	v_pk_fma_f32 v[24:25], v[110:111], s[10:11], v[24:25] op_sel_hi:[1,0,1]
	v_mov_b32_e32 v123, v164
	v_mov_b32_e32 v153, v170
	;; [unrolled: 1-line block ×6, first 2 shown]
	v_pk_add_f32 v[108:109], v[22:23], v[24:25]
	v_pk_add_f32 v[22:23], v[22:23], v[24:25] neg_lo:[0,1] neg_hi:[0,1]
	v_add_f32_e32 v107, v122, v152
	v_pk_add_f32 v[24:25], v[122:123], v[152:153] neg_lo:[0,1] neg_hi:[0,1]
	v_mov_b32_e32 v158, v161
	v_mov_b32_e32 v168, v175
	v_add_f32_e32 v114, v159, v169
	v_pk_add_f32 v[122:123], v[164:165], v[170:171]
	v_mov_b32_e32 v126, v177
	v_mov_b32_e32 v127, v172
	v_pk_add_f32 v[128:129], v[162:163], v[172:173]
	v_mov_b32_e32 v130, v167
	v_mov_b32_e32 v131, v162
	v_pk_add_f32 v[112:113], v[158:159], v[168:169] neg_lo:[0,1] neg_hi:[0,1]
	v_pk_add_f32 v[126:127], v[126:127], v[130:131] neg_lo:[0,1] neg_hi:[0,1]
	v_mov_b32_e32 v130, v128
	v_mov_b32_e32 v131, v107
	;; [unrolled: 1-line block ×6, first 2 shown]
	v_pk_add_f32 v[130:131], v[130:131], v[132:133] neg_lo:[0,1] neg_hi:[0,1]
	v_mov_b32_e32 v132, v126
	v_mov_b32_e32 v133, v25
	;; [unrolled: 1-line block ×4, first 2 shown]
	v_pk_add_f32 v[156:157], v[122:123], v[128:129] neg_lo:[0,1] neg_hi:[0,1]
	v_mov_b32_e32 v129, v123
	v_pk_add_f32 v[122:123], v[114:115], v[106:107]
	v_pk_add_f32 v[150:151], v[132:133], v[136:137] neg_lo:[0,1] neg_hi:[0,1]
	v_mov_b32_e32 v132, v24
	v_mov_b32_e32 v133, v127
	v_pk_add_f32 v[152:153], v[126:127], v[112:113]
	v_mov_b32_e32 v127, v113
	v_pk_add_f32 v[122:123], v[128:129], v[122:123]
	v_pk_add_f32 v[154:155], v[132:133], v[126:127] neg_lo:[0,1] neg_hi:[0,1]
	v_pk_add_f32 v[136:137], v[122:123], v[0:1]
	v_pk_mul_f32 v[132:133], v[130:131], s[8:9]
	v_mov_b32_e32 v57, v61
	v_mov_b32_e32 v55, v67
	;; [unrolled: 1-line block ×4, first 2 shown]
	v_pk_mul_f32 v[130:131], v[150:151], s[18:19]
	v_pk_fma_f32 v[128:129], v[122:123], s[16:17], v[136:137] op_sel_hi:[1,0,1] neg_lo:[1,0,0] neg_hi:[1,0,0]
	v_pk_fma_f32 v[0:1], v[156:157], s[14:15], v[132:133]
	v_pk_fma_f32 v[50:51], v[50:51], s[2:3], v[56:57] op_sel_hi:[1,0,1] neg_lo:[0,0,1] neg_hi:[0,0,1]
	v_pk_fma_f32 v[52:53], v[52:53], s[6:7], v[54:55] op_sel_hi:[1,0,1] neg_lo:[0,0,1] neg_hi:[0,0,1]
	;; [unrolled: 1-line block ×4, first 2 shown]
	v_pk_add_f32 v[126:127], v[152:153], v[24:25]
	v_pk_add_f32 v[122:123], v[0:1], v[128:129]
	v_pk_fma_f32 v[0:1], v[154:155], s[12:13], v[130:131]
	v_pk_add_f32 v[18:19], v[50:51], v[18:19]
	v_pk_fma_f32 v[46:47], v[46:47], s[10:11], v[52:53] op_sel_hi:[1,0,1]
	v_pk_add_f32 v[26:27], v[70:71], v[26:27]
	v_pk_fma_f32 v[48:49], v[48:49], s[10:11], v[68:69] op_sel_hi:[1,0,1]
	v_pk_fma_f32 v[150:151], v[126:127], s[10:11], v[0:1] op_sel_hi:[1,0,1]
	v_pk_add_f32 v[50:51], v[18:19], v[46:47] neg_lo:[0,1] neg_hi:[0,1]
	v_pk_add_f32 v[66:67], v[18:19], v[46:47]
	v_pk_add_f32 v[68:69], v[26:27], v[48:49] neg_lo:[0,1] neg_hi:[0,1]
	v_pk_add_f32 v[26:27], v[26:27], v[48:49]
	v_pk_add_f32 v[0:1], v[122:123], v[150:151]
	v_pk_add_f32 v[122:123], v[122:123], v[150:151] neg_lo:[0,1] neg_hi:[0,1]
	v_mov_b32_e32 v150, v50
	v_mov_b32_e32 v151, v67
	;; [unrolled: 1-line block ×5, first 2 shown]
	v_pk_mul_f32 v[60:61], v[140:141], s[14:15]
	v_pk_mul_f32 v[58:59], v[138:139], s[12:13]
	v_mov_b32_e32 v48, v68
	v_mov_b32_e32 v49, v27
	;; [unrolled: 1-line block ×5, first 2 shown]
	ds_write2_b64 v217, v[150:151], v[48:49] offset0:54 offset1:103
	ds_write2_b64 v203, v[66:67], v[26:27] offset0:141 offset1:190
	;; [unrolled: 1-line block ×5, first 2 shown]
	v_pk_add_f32 v[6:7], v[34:35], v[30:31] neg_lo:[0,1] neg_hi:[0,1]
	v_pk_add_f32 v[8:9], v[32:33], v[20:21] neg_lo:[0,1] neg_hi:[0,1]
	v_mov_b32_e32 v10, v60
	v_mov_b32_e32 v11, v81
	;; [unrolled: 1-line block ×4, first 2 shown]
	v_pk_fma_f32 v[10:11], v[6:7], s[2:3], v[10:11] op_sel_hi:[1,0,1] neg_lo:[1,0,1] neg_hi:[1,0,1]
	v_pk_fma_f32 v[12:13], v[8:9], s[6:7], v[12:13] op_sel_hi:[1,0,1] neg_lo:[1,0,1] neg_hi:[1,0,1]
	v_mov_b32_e32 v81, v61
	v_mov_b32_e32 v65, v59
	v_pk_add_f32 v[10:11], v[10:11], v[44:45]
	v_pk_fma_f32 v[12:13], v[40:41], s[10:11], v[12:13] op_sel_hi:[1,0,1]
	v_pk_fma_f32 v[6:7], v[6:7], s[2:3], v[80:81] op_sel_hi:[1,0,1] neg_lo:[0,0,1] neg_hi:[0,0,1]
	v_pk_fma_f32 v[8:9], v[8:9], s[6:7], v[64:65] op_sel_hi:[1,0,1] neg_lo:[0,0,1] neg_hi:[0,0,1]
	v_pk_add_f32 v[14:15], v[10:11], v[12:13]
	v_pk_add_f32 v[10:11], v[10:11], v[12:13] neg_lo:[0,1] neg_hi:[0,1]
	v_pk_add_f32 v[6:7], v[6:7], v[44:45]
	v_pk_fma_f32 v[8:9], v[40:41], s[10:11], v[8:9] op_sel_hi:[1,0,1]
	v_pk_mul_f32 v[56:57], v[144:145], s[14:15]
	v_pk_mul_f32 v[54:55], v[142:143], s[12:13]
	v_mov_b32_e32 v2, v28
	v_mov_b32_e32 v3, v5
	;; [unrolled: 1-line block ×4, first 2 shown]
	v_pk_add_f32 v[16:17], v[6:7], v[8:9] neg_lo:[0,1] neg_hi:[0,1]
	v_pk_add_f32 v[6:7], v[6:7], v[8:9]
	v_mov_b32_e32 v11, v15
	v_mov_b32_e32 v14, v88
	;; [unrolled: 1-line block ×6, first 2 shown]
	ds_write2_b64 v178, v[2:3], v[14:15] offset0:106 offset1:155
	v_pk_add_f32 v[2:3], v[76:77], v[38:39] neg_lo:[0,1] neg_hi:[0,1]
	v_pk_add_f32 v[14:15], v[62:63], v[36:37] neg_lo:[0,1] neg_hi:[0,1]
	v_mov_b32_e32 v16, v56
	v_mov_b32_e32 v17, v103
	;; [unrolled: 1-line block ×4, first 2 shown]
	v_pk_fma_f32 v[16:17], v[2:3], s[2:3], v[16:17] op_sel_hi:[1,0,1] neg_lo:[1,0,1] neg_hi:[1,0,1]
	v_pk_fma_f32 v[20:21], v[14:15], s[6:7], v[20:21] op_sel_hi:[1,0,1] neg_lo:[1,0,1] neg_hi:[1,0,1]
	v_pk_add_f32 v[16:17], v[16:17], v[100:101]
	v_pk_fma_f32 v[20:21], v[92:93], s[10:11], v[20:21] op_sel_hi:[1,0,1]
	v_mov_b32_e32 v103, v57
	v_pk_add_f32 v[26:27], v[16:17], v[20:21]
	v_pk_add_f32 v[16:17], v[16:17], v[20:21] neg_lo:[0,1] neg_hi:[0,1]
	v_mov_b32_e32 v20, v26
	v_mov_b32_e32 v21, v17
	;; [unrolled: 1-line block ×3, first 2 shown]
	ds_write2_b64 v216, v[12:13], v[20:21] offset0:65 offset1:114
	v_pk_fma_f32 v[2:3], v[2:3], s[2:3], v[102:103] op_sel_hi:[1,0,1] neg_lo:[0,0,1] neg_hi:[0,0,1]
	v_pk_fma_f32 v[12:13], v[14:15], s[6:7], v[98:99] op_sel_hi:[1,0,1] neg_lo:[0,0,1] neg_hi:[0,0,1]
	v_pk_add_f32 v[2:3], v[2:3], v[100:101]
	v_pk_fma_f32 v[12:13], v[92:93], s[10:11], v[12:13] op_sel_hi:[1,0,1]
	v_pk_mul_f32 v[52:53], v[148:149], s[14:15]
	v_pk_add_f32 v[14:15], v[2:3], v[12:13] neg_lo:[0,1] neg_hi:[0,1]
	v_pk_add_f32 v[2:3], v[2:3], v[12:13]
	v_mov_b32_e32 v12, v14
	v_mov_b32_e32 v13, v3
	v_pk_mul_f32 v[50:51], v[146:147], s[12:13]
	v_mov_b32_e32 v5, v29
	ds_write2_b64 v217, v[8:9], v[12:13] offset0:152 offset1:201
	v_mov_b32_e32 v3, v15
	v_accvgpr_read_b32 v8, a188
	v_mov_b32_e32 v17, v27
	v_mov_b32_e32 v91, v89
	ds_write2_b64 v8, v[6:7], v[2:3] offset0:111 offset1:160
	ds_write2_b64 v188, v[10:11], v[16:17] offset0:70 offset1:119
	;; [unrolled: 1-line block ×4, first 2 shown]
	v_pk_add_f32 v[4:5], v[96:97], v[86:87] neg_lo:[0,1] neg_hi:[0,1]
	v_pk_add_f32 v[6:7], v[94:95], v[82:83] neg_lo:[0,1] neg_hi:[0,1]
	v_mov_b32_e32 v8, v52
	v_mov_b32_e32 v9, v121
	;; [unrolled: 1-line block ×4, first 2 shown]
	v_pk_fma_f32 v[8:9], v[4:5], s[2:3], v[8:9] op_sel_hi:[1,0,1] neg_lo:[1,0,1] neg_hi:[1,0,1]
	v_pk_fma_f32 v[10:11], v[6:7], s[6:7], v[10:11] op_sel_hi:[1,0,1] neg_lo:[1,0,1] neg_hi:[1,0,1]
	v_mov_b32_e32 v121, v53
	v_mov_b32_e32 v119, v51
	v_pk_add_f32 v[8:9], v[8:9], v[116:117]
	v_pk_fma_f32 v[10:11], v[110:111], s[10:11], v[10:11] op_sel_hi:[1,0,1]
	v_pk_fma_f32 v[4:5], v[4:5], s[2:3], v[120:121] op_sel_hi:[1,0,1] neg_lo:[0,0,1] neg_hi:[0,0,1]
	v_pk_fma_f32 v[6:7], v[6:7], s[6:7], v[118:119] op_sel_hi:[1,0,1] neg_lo:[0,0,1] neg_hi:[0,0,1]
	v_pk_add_f32 v[12:13], v[8:9], v[10:11]
	v_pk_add_f32 v[8:9], v[8:9], v[10:11] neg_lo:[0,1] neg_hi:[0,1]
	v_pk_add_f32 v[4:5], v[4:5], v[116:117]
	v_pk_fma_f32 v[6:7], v[110:111], s[10:11], v[6:7] op_sel_hi:[1,0,1]
	v_pk_mul_f32 v[46:47], v[156:157], s[14:15]
	v_pk_mul_f32 v[18:19], v[154:155], s[12:13]
	v_mov_b32_e32 v2, v108
	v_mov_b32_e32 v3, v23
	;; [unrolled: 1-line block ×4, first 2 shown]
	v_pk_add_f32 v[14:15], v[4:5], v[6:7] neg_lo:[0,1] neg_hi:[0,1]
	v_pk_add_f32 v[4:5], v[4:5], v[6:7]
	v_mov_b32_e32 v9, v13
	v_mov_b32_e32 v12, v0
	;; [unrolled: 1-line block ×6, first 2 shown]
	ds_write2_b64 v189, v[2:3], v[12:13] offset0:76 offset1:125
	v_pk_add_f32 v[2:3], v[114:115], v[106:107] neg_lo:[0,1] neg_hi:[0,1]
	v_pk_add_f32 v[12:13], v[112:113], v[24:25] neg_lo:[0,1] neg_hi:[0,1]
	v_mov_b32_e32 v14, v46
	v_mov_b32_e32 v15, v133
	;; [unrolled: 1-line block ×4, first 2 shown]
	v_pk_fma_f32 v[14:15], v[2:3], s[2:3], v[14:15] op_sel_hi:[1,0,1] neg_lo:[1,0,1] neg_hi:[1,0,1]
	v_pk_fma_f32 v[16:17], v[12:13], s[6:7], v[16:17] op_sel_hi:[1,0,1] neg_lo:[1,0,1] neg_hi:[1,0,1]
	v_pk_add_f32 v[14:15], v[14:15], v[128:129]
	v_pk_fma_f32 v[16:17], v[126:127], s[10:11], v[16:17] op_sel_hi:[1,0,1]
	v_mov_b32_e32 v133, v47
	v_pk_add_f32 v[20:21], v[14:15], v[16:17]
	v_pk_add_f32 v[14:15], v[14:15], v[16:17] neg_lo:[0,1] neg_hi:[0,1]
	v_mov_b32_e32 v16, v20
	v_mov_b32_e32 v17, v15
	;; [unrolled: 1-line block ×3, first 2 shown]
	ds_write2_b64 v216, v[10:11], v[16:17] offset0:163 offset1:212
	v_pk_fma_f32 v[2:3], v[2:3], s[2:3], v[132:133] op_sel_hi:[1,0,1] neg_lo:[0,0,1] neg_hi:[0,0,1]
	v_pk_fma_f32 v[10:11], v[12:13], s[6:7], v[130:131] op_sel_hi:[1,0,1] neg_lo:[0,0,1] neg_hi:[0,0,1]
	v_pk_add_f32 v[2:3], v[2:3], v[128:129]
	v_pk_fma_f32 v[10:11], v[126:127], s[10:11], v[10:11] op_sel_hi:[1,0,1]
	v_mov_b32_e32 v23, v109
	v_pk_add_f32 v[12:13], v[2:3], v[10:11] neg_lo:[0,1] neg_hi:[0,1]
	v_pk_add_f32 v[2:3], v[2:3], v[10:11]
	v_mov_b32_e32 v10, v12
	v_mov_b32_e32 v11, v3
	;; [unrolled: 1-line block ×5, first 2 shown]
	v_accvgpr_read_b32 v0, a102
	ds_write_b64 v186, v[136:137] offset:2352
	ds_write2_b64 v200, v[6:7], v[10:11] offset0:122 offset1:171
	ds_write2_b64 v201, v[4:5], v[2:3] offset0:81 offset1:130
	ds_write2_b64 v188, v[8:9], v[14:15] offset0:168 offset1:217
	ds_write2_b64 v0, v[22:23], v[122:123] offset0:127 offset1:176
	s_waitcnt lgkmcnt(0)
	; wave barrier
	s_waitcnt lgkmcnt(0)
	ds_read2_b64 v[6:9], v186 offset1:49
	scratch_load_dwordx2 v[14:15], off, off offset:32 ; 8-byte Folded Reload
	scratch_load_dwordx2 v[0:1], off, off offset:40 ; 8-byte Folded Reload
	v_accvgpr_read_b32 v2, a48
	v_accvgpr_read_b32 v3, a49
	v_mov_b32_e32 v4, s0
	v_mov_b32_e32 v5, s1
	s_mov_b32 s0, 0x5cf97efd
	s_mov_b32 s1, 0x3f3b4b98
	v_mov_b32_e32 v16, 0xab8
	v_mov_b32_e32 v23, 0xab8
	;; [unrolled: 1-line block ×3, first 2 shown]
	s_waitcnt vmcnt(0)
	v_mov_b32_e32 v15, v0
	s_waitcnt lgkmcnt(0)
	v_mul_f32_e32 v0, v3, v7
	v_fmac_f32_e32 v0, v2, v6
	v_cvt_f64_f32_e32 v[0:1], v0
	v_mul_f64 v[0:1], v[0:1], s[0:1]
	v_cvt_f32_f64_e32 v10, v[0:1]
	v_mul_f32_e32 v0, v3, v6
	v_fma_f32 v0, v2, v7, -v0
	v_cvt_f64_f32_e32 v[0:1], v0
	v_accvgpr_read_b32 v2, a104
	v_mul_f64 v[0:1], v[0:1], s[0:1]
	v_mad_u64_u32 v[6:7], s[2:3], s4, v2, 0
	v_cvt_f32_f64_e32 v11, v[0:1]
	v_mov_b32_e32 v0, v7
	v_mad_u64_u32 v[12:13], s[2:3], s5, v2, v[0:1]
	ds_read2_b64 v[0:3], v225 offset0:38 offset1:87
	v_mov_b32_e32 v7, v12
	v_lshl_add_u64 v[4:5], v[14:15], 3, v[4:5]
	v_lshl_add_u64 v[4:5], v[6:7], 3, v[4:5]
	global_store_dwordx2 v[4:5], v[10:11], off
	v_accvgpr_read_b32 v10, a92
	v_accvgpr_read_b32 v11, a93
	s_waitcnt lgkmcnt(0)
	v_mul_f32_e32 v6, v11, v3
	v_fmac_f32_e32 v6, v10, v2
	v_mul_f32_e32 v2, v11, v2
	v_fma_f32 v2, v10, v3, -v2
	ds_read2_b64 v[10:13], v189 offset0:174 offset1:223
	v_cvt_f64_f32_e32 v[6:7], v6
	v_cvt_f64_f32_e32 v[2:3], v2
	v_mad_u64_u32 v[14:15], s[2:3], s4, v16, v[4:5]
	v_accvgpr_read_b32 v4, a96
	v_mul_f64 v[6:7], v[6:7], s[0:1]
	v_mul_f64 v[2:3], v[2:3], s[0:1]
	v_accvgpr_read_b32 v5, a97
	v_cvt_f32_f64_e32 v6, v[6:7]
	v_cvt_f32_f64_e32 v7, v[2:3]
	s_waitcnt lgkmcnt(0)
	v_mul_f32_e32 v2, v5, v11
	v_fmac_f32_e32 v2, v4, v10
	s_mul_i32 s2, s5, 0xab8
	v_cvt_f64_f32_e32 v[2:3], v2
	v_add_u32_e32 v15, s2, v15
	v_mul_f64 v[2:3], v[2:3], s[0:1]
	global_store_dwordx2 v[14:15], v[6:7], off
	v_cvt_f32_f64_e32 v6, v[2:3]
	v_mul_f32_e32 v2, v5, v10
	v_fma_f32 v2, v4, v11, -v2
	v_cvt_f64_f32_e32 v[2:3], v2
	v_mul_f64 v[2:3], v[2:3], s[0:1]
	v_cvt_f32_f64_e32 v7, v[2:3]
	ds_read2_b64 v[2:5], v218 offset0:84 offset1:133
	v_mad_u64_u32 v[10:11], s[6:7], s4, v16, v[14:15]
	v_accvgpr_read_b32 v14, a100
	v_add_u32_e32 v11, s2, v11
	v_accvgpr_read_b32 v15, a101
	global_store_dwordx2 v[10:11], v[6:7], off
	s_waitcnt lgkmcnt(0)
	v_mul_f32_e32 v6, v15, v5
	v_fmac_f32_e32 v6, v14, v4
	v_mul_f32_e32 v4, v15, v4
	v_fma_f32 v4, v14, v5, -v4
	v_cvt_f64_f32_e32 v[6:7], v6
	v_cvt_f64_f32_e32 v[4:5], v4
	ds_read2_b64 v[14:17], v203 offset0:92 offset1:141
	v_mul_f64 v[6:7], v[6:7], s[0:1]
	v_mul_f64 v[4:5], v[4:5], s[0:1]
	v_mad_u64_u32 v[10:11], s[6:7], s4, v23, v[10:11]
	v_cvt_f32_f64_e32 v6, v[6:7]
	v_cvt_f32_f64_e32 v7, v[4:5]
	v_add_u32_e32 v11, s2, v11
	global_store_dwordx2 v[10:11], v[6:7], off
	v_accvgpr_read_b32 v6, a98
	v_accvgpr_read_b32 v7, a99
	s_waitcnt lgkmcnt(0)
	v_mul_f32_e32 v4, v7, v15
	v_fmac_f32_e32 v4, v6, v14
	v_cvt_f64_f32_e32 v[4:5], v4
	v_mul_f64 v[4:5], v[4:5], s[0:1]
	v_cvt_f32_f64_e32 v18, v[4:5]
	v_mul_f32_e32 v4, v7, v14
	v_fma_f32 v4, v6, v15, -v4
	v_cvt_f64_f32_e32 v[4:5], v4
	v_mul_f64 v[4:5], v[4:5], s[0:1]
	v_cvt_f32_f64_e32 v19, v[4:5]
	ds_read2_b64 v[4:7], v201 offset0:130 offset1:179
	v_mad_u64_u32 v[10:11], s[6:7], s4, v23, v[10:11]
	v_add_u32_e32 v11, s2, v11
	global_store_dwordx2 v[10:11], v[18:19], off
	v_accvgpr_read_b32 v18, a90
	v_accvgpr_read_b32 v19, a91
	s_waitcnt lgkmcnt(0)
	v_mul_f32_e32 v14, v19, v7
	v_fmac_f32_e32 v14, v18, v6
	v_mul_f32_e32 v6, v19, v6
	v_fma_f32 v6, v18, v7, -v6
	v_cvt_f64_f32_e32 v[14:15], v14
	v_cvt_f64_f32_e32 v[6:7], v6
	v_mul_f64 v[14:15], v[14:15], s[0:1]
	v_mul_f64 v[6:7], v[6:7], s[0:1]
	ds_read2_b64 v[18:21], v187 offset0:10 offset1:59
	v_cvt_f32_f64_e32 v14, v[14:15]
	v_cvt_f32_f64_e32 v15, v[6:7]
	v_mad_u64_u32 v[6:7], s[6:7], s4, v23, v[10:11]
	v_add_u32_e32 v7, s2, v7
	global_store_dwordx2 v[6:7], v[14:15], off
	v_accvgpr_read_b32 v14, a94
	v_accvgpr_read_b32 v15, a95
	s_waitcnt lgkmcnt(0)
	v_mul_f32_e32 v10, v15, v19
	v_fmac_f32_e32 v10, v14, v18
	v_cvt_f64_f32_e32 v[10:11], v10
	v_mul_f64 v[10:11], v[10:11], s[0:1]
	v_cvt_f32_f64_e32 v10, v[10:11]
	v_mul_f32_e32 v11, v15, v18
	v_fma_f32 v11, v14, v19, -v11
	v_cvt_f64_f32_e32 v[14:15], v11
	v_mul_f64 v[14:15], v[14:15], s[0:1]
	v_cvt_f32_f64_e32 v11, v[14:15]
	v_mad_u64_u32 v[6:7], s[6:7], s4, v23, v[6:7]
	v_accvgpr_read_b32 v14, a88
	v_add_u32_e32 v7, s2, v7
	v_accvgpr_read_b32 v15, a89
	global_store_dwordx2 v[6:7], v[10:11], off
	v_mul_f32_e32 v10, v15, v9
	v_fmac_f32_e32 v10, v14, v8
	v_mul_f32_e32 v8, v15, v8
	v_fma_f32 v8, v14, v9, -v8
	v_cvt_f64_f32_e32 v[10:11], v10
	v_cvt_f64_f32_e32 v[8:9], v8
	v_mul_f64 v[10:11], v[10:11], s[0:1]
	v_mul_f64 v[8:9], v[8:9], s[0:1]
	v_cvt_f32_f64_e32 v10, v[10:11]
	v_cvt_f32_f64_e32 v11, v[8:9]
	v_mad_u64_u32 v[14:15], s[6:7], s4, v22, v[6:7]
	ds_read2_b64 v[6:9], v225 offset0:136 offset1:185
	s_mul_i32 s3, s5, 0xffffc138
	s_sub_i32 s3, s3, s4
	v_accvgpr_read_b32 v18, a86
	v_add_u32_e32 v15, s3, v15
	v_accvgpr_read_b32 v19, a87
	global_store_dwordx2 v[14:15], v[10:11], off
	s_waitcnt lgkmcnt(0)
	v_mul_f32_e32 v10, v19, v7
	v_fmac_f32_e32 v10, v18, v6
	v_mul_f32_e32 v6, v19, v6
	v_fma_f32 v6, v18, v7, -v6
	v_cvt_f64_f32_e32 v[10:11], v10
	v_cvt_f64_f32_e32 v[6:7], v6
	v_mul_f64 v[10:11], v[10:11], s[0:1]
	v_mul_f64 v[6:7], v[6:7], s[0:1]
	v_cvt_f32_f64_e32 v10, v[10:11]
	v_cvt_f32_f64_e32 v11, v[6:7]
	v_mad_u64_u32 v[6:7], s[6:7], s4, v23, v[14:15]
	v_accvgpr_read_b32 v18, a84
	v_add_u32_e32 v7, s2, v7
	v_accvgpr_read_b32 v19, a85
	global_store_dwordx2 v[6:7], v[10:11], off
	v_mul_f32_e32 v10, v19, v13
	v_fmac_f32_e32 v10, v18, v12
	v_cvt_f64_f32_e32 v[10:11], v10
	v_mul_f64 v[10:11], v[10:11], s[0:1]
	v_cvt_f32_f64_e32 v14, v[10:11]
	v_mul_f32_e32 v10, v19, v12
	v_fma_f32 v10, v18, v13, -v10
	v_cvt_f64_f32_e32 v[10:11], v10
	v_mul_f64 v[10:11], v[10:11], s[0:1]
	v_cvt_f32_f64_e32 v15, v[10:11]
	ds_read2_b64 v[10:13], v217 offset0:54 offset1:103
	v_mad_u64_u32 v[6:7], s[6:7], s4, v23, v[6:7]
	v_accvgpr_read_b32 v18, a82
	v_add_u32_e32 v7, s2, v7
	v_accvgpr_read_b32 v19, a83
	global_store_dwordx2 v[6:7], v[14:15], off
	s_waitcnt lgkmcnt(0)
	v_mul_f32_e32 v14, v19, v11
	v_fmac_f32_e32 v14, v18, v10
	v_mul_f32_e32 v10, v19, v10
	v_fma_f32 v10, v18, v11, -v10
	v_cvt_f64_f32_e32 v[14:15], v14
	v_cvt_f64_f32_e32 v[10:11], v10
	v_mul_f64 v[14:15], v[14:15], s[0:1]
	v_mul_f64 v[10:11], v[10:11], s[0:1]
	v_mad_u64_u32 v[6:7], s[6:7], s4, v23, v[6:7]
	v_cvt_f32_f64_e32 v14, v[14:15]
	v_cvt_f32_f64_e32 v15, v[10:11]
	v_add_u32_e32 v7, s2, v7
	global_store_dwordx2 v[6:7], v[14:15], off
	v_accvgpr_read_b32 v14, a80
	v_accvgpr_read_b32 v15, a81
	v_mul_f32_e32 v10, v15, v17
	v_fmac_f32_e32 v10, v14, v16
	v_cvt_f64_f32_e32 v[10:11], v10
	v_mul_f64 v[10:11], v[10:11], s[0:1]
	v_cvt_f32_f64_e32 v10, v[10:11]
	v_mul_f32_e32 v11, v15, v16
	v_fma_f32 v11, v14, v17, -v11
	v_cvt_f64_f32_e32 v[14:15], v11
	v_mul_f64 v[14:15], v[14:15], s[0:1]
	v_cvt_f32_f64_e32 v11, v[14:15]
	ds_read2_b64 v[14:17], v202 offset0:100 offset1:149
	v_mad_u64_u32 v[6:7], s[6:7], s4, v23, v[6:7]
	v_accvgpr_read_b32 v18, a76
	v_add_u32_e32 v7, s2, v7
	v_accvgpr_read_b32 v19, a77
	global_store_dwordx2 v[6:7], v[10:11], off
	s_waitcnt lgkmcnt(0)
	v_mul_f32_e32 v10, v19, v15
	v_fmac_f32_e32 v10, v18, v14
	v_cvt_f64_f32_e32 v[10:11], v10
	v_mul_f64 v[10:11], v[10:11], s[0:1]
	v_cvt_f32_f64_e32 v10, v[10:11]
	v_mul_f32_e32 v11, v19, v14
	v_fma_f32 v11, v18, v15, -v11
	v_cvt_f64_f32_e32 v[14:15], v11
	v_mul_f64 v[14:15], v[14:15], s[0:1]
	v_cvt_f32_f64_e32 v11, v[14:15]
	v_mad_u64_u32 v[6:7], s[6:7], s4, v23, v[6:7]
	v_accvgpr_read_b32 v14, a78
	v_add_u32_e32 v7, s2, v7
	v_accvgpr_read_b32 v15, a79
	global_store_dwordx2 v[6:7], v[10:11], off
	v_mul_f32_e32 v10, v15, v21
	v_fmac_f32_e32 v10, v14, v20
	v_cvt_f64_f32_e32 v[10:11], v10
	v_mul_f64 v[10:11], v[10:11], s[0:1]
	v_cvt_f32_f64_e32 v10, v[10:11]
	v_mul_f32_e32 v11, v15, v20
	v_fma_f32 v11, v14, v21, -v11
	ds_read2_b64 v[18:21], v186 offset0:98 offset1:147
	v_cvt_f64_f32_e32 v[14:15], v11
	v_mul_f64 v[14:15], v[14:15], s[0:1]
	v_cvt_f32_f64_e32 v11, v[14:15]
	v_mad_u64_u32 v[6:7], s[6:7], s4, v23, v[6:7]
	v_accvgpr_read_b32 v14, a180
	v_add_u32_e32 v7, s2, v7
	v_accvgpr_read_b32 v15, a181
	global_store_dwordx2 v[6:7], v[10:11], off
	s_waitcnt lgkmcnt(0)
	v_mul_f32_e32 v10, v15, v19
	v_fmac_f32_e32 v10, v14, v18
	v_cvt_f64_f32_e32 v[10:11], v10
	v_mul_f64 v[10:11], v[10:11], s[0:1]
	v_cvt_f32_f64_e32 v10, v[10:11]
	v_mul_f32_e32 v11, v15, v18
	v_fma_f32 v11, v14, v19, -v11
	v_cvt_f64_f32_e32 v[14:15], v11
	v_accvgpr_read_b32 v18, a74
	v_mul_f64 v[14:15], v[14:15], s[0:1]
	v_accvgpr_read_b32 v19, a75
	v_cvt_f32_f64_e32 v11, v[14:15]
	v_mad_u64_u32 v[14:15], s[6:7], s4, v22, v[6:7]
	v_mul_f32_e32 v6, v19, v9
	v_fmac_f32_e32 v6, v18, v8
	v_cvt_f64_f32_e32 v[6:7], v6
	v_add_u32_e32 v15, s3, v15
	v_mul_f64 v[6:7], v[6:7], s[0:1]
	global_store_dwordx2 v[14:15], v[10:11], off
	v_cvt_f32_f64_e32 v10, v[6:7]
	v_mul_f32_e32 v6, v19, v8
	v_fma_f32 v6, v18, v9, -v6
	v_cvt_f64_f32_e32 v[6:7], v6
	v_mul_f64 v[6:7], v[6:7], s[0:1]
	v_cvt_f32_f64_e32 v11, v[6:7]
	ds_read2_b64 v[6:9], v216 offset0:16 offset1:65
	v_mad_u64_u32 v[14:15], s[6:7], s4, v23, v[14:15]
	v_accvgpr_read_b32 v18, a72
	v_add_u32_e32 v15, s2, v15
	v_accvgpr_read_b32 v19, a73
	global_store_dwordx2 v[14:15], v[10:11], off
	s_waitcnt lgkmcnt(0)
	v_mul_f32_e32 v10, v19, v7
	v_fmac_f32_e32 v10, v18, v6
	v_mul_f32_e32 v6, v19, v6
	v_fma_f32 v6, v18, v7, -v6
	v_cvt_f64_f32_e32 v[10:11], v10
	v_cvt_f64_f32_e32 v[6:7], v6
	v_mul_f64 v[10:11], v[10:11], s[0:1]
	v_mul_f64 v[6:7], v[6:7], s[0:1]
	v_cvt_f32_f64_e32 v10, v[10:11]
	v_cvt_f32_f64_e32 v11, v[6:7]
	v_mad_u64_u32 v[6:7], s[6:7], s4, v23, v[14:15]
	v_accvgpr_read_b32 v18, a70
	v_add_u32_e32 v7, s2, v7
	v_accvgpr_read_b32 v19, a71
	global_store_dwordx2 v[6:7], v[10:11], off
	v_mul_f32_e32 v10, v19, v13
	v_fmac_f32_e32 v10, v18, v12
	v_cvt_f64_f32_e32 v[10:11], v10
	v_mul_f64 v[10:11], v[10:11], s[0:1]
	v_cvt_f32_f64_e32 v14, v[10:11]
	v_mul_f32_e32 v10, v19, v12
	v_fma_f32 v10, v18, v13, -v10
	v_cvt_f64_f32_e32 v[10:11], v10
	v_mul_f64 v[10:11], v[10:11], s[0:1]
	v_cvt_f32_f64_e32 v15, v[10:11]
	ds_read2_b64 v[10:13], v203 offset0:190 offset1:239
	v_mad_u64_u32 v[6:7], s[6:7], s4, v23, v[6:7]
	v_accvgpr_read_b32 v18, a68
	v_add_u32_e32 v7, s2, v7
	v_accvgpr_read_b32 v19, a69
	global_store_dwordx2 v[6:7], v[14:15], off
	s_waitcnt lgkmcnt(0)
	v_mul_f32_e32 v14, v19, v11
	v_fmac_f32_e32 v14, v18, v10
	v_mul_f32_e32 v10, v19, v10
	v_fma_f32 v10, v18, v11, -v10
	v_cvt_f64_f32_e32 v[14:15], v14
	v_cvt_f64_f32_e32 v[10:11], v10
	v_mul_f64 v[14:15], v[14:15], s[0:1]
	v_mul_f64 v[10:11], v[10:11], s[0:1]
	v_mad_u64_u32 v[6:7], s[6:7], s4, v23, v[6:7]
	v_cvt_f32_f64_e32 v14, v[14:15]
	v_cvt_f32_f64_e32 v15, v[10:11]
	v_add_u32_e32 v7, s2, v7
	global_store_dwordx2 v[6:7], v[14:15], off
	v_accvgpr_read_b32 v14, a66
	v_accvgpr_read_b32 v15, a67
	v_mul_f32_e32 v10, v15, v17
	v_fmac_f32_e32 v10, v14, v16
	v_cvt_f64_f32_e32 v[10:11], v10
	v_mul_f64 v[10:11], v[10:11], s[0:1]
	v_cvt_f32_f64_e32 v10, v[10:11]
	v_mul_f32_e32 v11, v15, v16
	v_fma_f32 v11, v14, v17, -v11
	v_cvt_f64_f32_e32 v[14:15], v11
	v_mul_f64 v[14:15], v[14:15], s[0:1]
	v_cvt_f32_f64_e32 v11, v[14:15]
	ds_read2_b64 v[14:17], v187 offset0:108 offset1:157
	v_mad_u64_u32 v[6:7], s[6:7], s4, v23, v[6:7]
	v_accvgpr_read_b32 v18, a64
	v_add_u32_e32 v7, s2, v7
	v_accvgpr_read_b32 v19, a65
	global_store_dwordx2 v[6:7], v[10:11], off
	s_waitcnt lgkmcnt(0)
	v_mul_f32_e32 v10, v19, v15
	v_fmac_f32_e32 v10, v18, v14
	v_cvt_f64_f32_e32 v[10:11], v10
	v_mul_f64 v[10:11], v[10:11], s[0:1]
	v_cvt_f32_f64_e32 v10, v[10:11]
	v_mul_f32_e32 v11, v19, v14
	v_fma_f32 v11, v18, v15, -v11
	v_cvt_f64_f32_e32 v[14:15], v11
	v_mul_f64 v[14:15], v[14:15], s[0:1]
	v_cvt_f32_f64_e32 v11, v[14:15]
	v_mad_u64_u32 v[6:7], s[6:7], s4, v23, v[6:7]
	v_accvgpr_read_b32 v14, a62
	v_add_u32_e32 v7, s2, v7
	v_accvgpr_read_b32 v15, a63
	global_store_dwordx2 v[6:7], v[10:11], off
	v_mul_f32_e32 v10, v15, v21
	v_fmac_f32_e32 v10, v14, v20
	v_cvt_f64_f32_e32 v[10:11], v10
	v_mul_f64 v[10:11], v[10:11], s[0:1]
	v_cvt_f32_f64_e32 v10, v[10:11]
	v_mul_f32_e32 v11, v15, v20
	v_fma_f32 v11, v14, v21, -v11
	ds_read2_b64 v[18:21], v178 offset0:106 offset1:155
	v_cvt_f64_f32_e32 v[14:15], v11
	v_mov_b32_e32 v22, 0xffffc138
	v_mul_f64 v[14:15], v[14:15], s[0:1]
	v_cvt_f32_f64_e32 v11, v[14:15]
	v_mad_u64_u32 v[6:7], s[6:7], s4, v22, v[6:7]
	v_accvgpr_read_b32 v14, a60
	v_add_u32_e32 v7, s3, v7
	v_accvgpr_read_b32 v15, a61
	global_store_dwordx2 v[6:7], v[10:11], off
	s_waitcnt lgkmcnt(0)
	v_mul_f32_e32 v10, v15, v19
	v_fmac_f32_e32 v10, v14, v18
	v_cvt_f64_f32_e32 v[10:11], v10
	v_mul_f64 v[10:11], v[10:11], s[0:1]
	v_cvt_f32_f64_e32 v10, v[10:11]
	v_mul_f32_e32 v11, v15, v18
	v_fma_f32 v11, v14, v19, -v11
	v_cvt_f64_f32_e32 v[14:15], v11
	v_accvgpr_read_b32 v18, a58
	v_mul_f64 v[14:15], v[14:15], s[0:1]
	v_accvgpr_read_b32 v19, a59
	v_cvt_f32_f64_e32 v11, v[14:15]
	v_mad_u64_u32 v[14:15], s[6:7], s4, v23, v[6:7]
	v_mul_f32_e32 v6, v19, v9
	v_fmac_f32_e32 v6, v18, v8
	v_cvt_f64_f32_e32 v[6:7], v6
	v_add_u32_e32 v15, s2, v15
	v_mul_f64 v[6:7], v[6:7], s[0:1]
	global_store_dwordx2 v[14:15], v[10:11], off
	v_cvt_f32_f64_e32 v10, v[6:7]
	v_mul_f32_e32 v6, v19, v8
	v_fma_f32 v6, v18, v9, -v6
	v_cvt_f64_f32_e32 v[6:7], v6
	v_mul_f64 v[6:7], v[6:7], s[0:1]
	v_cvt_f32_f64_e32 v11, v[6:7]
	ds_read2_b64 v[6:9], v217 offset0:152 offset1:201
	v_mad_u64_u32 v[14:15], s[6:7], s4, v23, v[14:15]
	v_accvgpr_read_b32 v18, a56
	v_add_u32_e32 v15, s2, v15
	v_accvgpr_read_b32 v19, a57
	global_store_dwordx2 v[14:15], v[10:11], off
	s_waitcnt lgkmcnt(0)
	v_mul_f32_e32 v10, v19, v7
	v_fmac_f32_e32 v10, v18, v6
	v_mul_f32_e32 v6, v19, v6
	v_fma_f32 v6, v18, v7, -v6
	v_cvt_f64_f32_e32 v[10:11], v10
	v_cvt_f64_f32_e32 v[6:7], v6
	v_mul_f64 v[10:11], v[10:11], s[0:1]
	v_mul_f64 v[6:7], v[6:7], s[0:1]
	v_cvt_f32_f64_e32 v10, v[10:11]
	v_cvt_f32_f64_e32 v11, v[6:7]
	v_mad_u64_u32 v[6:7], s[6:7], s4, v23, v[14:15]
	v_accvgpr_read_b32 v18, a54
	v_add_u32_e32 v7, s2, v7
	v_accvgpr_read_b32 v19, a55
	global_store_dwordx2 v[6:7], v[10:11], off
	v_mul_f32_e32 v10, v19, v13
	v_fmac_f32_e32 v10, v18, v12
	v_cvt_f64_f32_e32 v[10:11], v10
	v_mul_f64 v[10:11], v[10:11], s[0:1]
	v_cvt_f32_f64_e32 v14, v[10:11]
	v_mul_f32_e32 v10, v19, v12
	v_fma_f32 v10, v18, v13, -v10
	v_cvt_f64_f32_e32 v[10:11], v10
	v_mul_f64 v[10:11], v[10:11], s[0:1]
	v_cvt_f32_f64_e32 v15, v[10:11]
	ds_read2_b64 v[10:13], v188 offset0:70 offset1:119
	v_mad_u64_u32 v[6:7], s[6:7], s4, v23, v[6:7]
	v_accvgpr_read_b32 v18, a52
	v_add_u32_e32 v7, s2, v7
	v_accvgpr_read_b32 v19, a53
	global_store_dwordx2 v[6:7], v[14:15], off
	s_waitcnt lgkmcnt(0)
	v_mul_f32_e32 v14, v19, v11
	v_fmac_f32_e32 v14, v18, v10
	v_mul_f32_e32 v10, v19, v10
	v_fma_f32 v10, v18, v11, -v10
	v_cvt_f64_f32_e32 v[14:15], v14
	v_cvt_f64_f32_e32 v[10:11], v10
	v_mul_f64 v[14:15], v[14:15], s[0:1]
	v_mul_f64 v[10:11], v[10:11], s[0:1]
	v_mad_u64_u32 v[6:7], s[6:7], s4, v23, v[6:7]
	v_cvt_f32_f64_e32 v14, v[14:15]
	v_cvt_f32_f64_e32 v15, v[10:11]
	v_add_u32_e32 v7, s2, v7
	global_store_dwordx2 v[6:7], v[14:15], off
	v_accvgpr_read_b32 v14, a50
	v_accvgpr_read_b32 v15, a51
	v_mul_f32_e32 v10, v15, v17
	v_fmac_f32_e32 v10, v14, v16
	v_cvt_f64_f32_e32 v[10:11], v10
	v_mul_f64 v[10:11], v[10:11], s[0:1]
	v_cvt_f32_f64_e32 v10, v[10:11]
	v_mul_f32_e32 v11, v15, v16
	v_fma_f32 v11, v14, v17, -v11
	v_cvt_f64_f32_e32 v[14:15], v11
	v_mul_f64 v[14:15], v[14:15], s[0:1]
	v_cvt_f32_f64_e32 v11, v[14:15]
	ds_read2_b64 v[14:17], v186 offset0:196 offset1:245
	v_mad_u64_u32 v[6:7], s[6:7], s4, v23, v[6:7]
	v_accvgpr_read_b32 v18, a42
	v_add_u32_e32 v7, s2, v7
	v_accvgpr_read_b32 v19, a43
	global_store_dwordx2 v[6:7], v[10:11], off
	s_waitcnt lgkmcnt(0)
	v_mul_f32_e32 v10, v19, v15
	v_fmac_f32_e32 v10, v18, v14
	v_cvt_f64_f32_e32 v[10:11], v10
	v_mul_f64 v[10:11], v[10:11], s[0:1]
	v_cvt_f32_f64_e32 v10, v[10:11]
	v_mul_f32_e32 v11, v19, v14
	v_fma_f32 v11, v18, v15, -v11
	v_cvt_f64_f32_e32 v[14:15], v11
	v_mul_f64 v[14:15], v[14:15], s[0:1]
	v_cvt_f32_f64_e32 v11, v[14:15]
	v_mad_u64_u32 v[6:7], s[6:7], s4, v22, v[6:7]
	v_accvgpr_read_b32 v14, a38
	v_add_u32_e32 v7, s3, v7
	v_accvgpr_read_b32 v15, a39
	global_store_dwordx2 v[6:7], v[10:11], off
	v_mul_f32_e32 v10, v15, v21
	v_fmac_f32_e32 v10, v14, v20
	v_cvt_f64_f32_e32 v[10:11], v10
	v_mul_f64 v[10:11], v[10:11], s[0:1]
	v_cvt_f32_f64_e32 v10, v[10:11]
	v_mul_f32_e32 v11, v15, v20
	v_fma_f32 v11, v14, v21, -v11
	ds_read2_b64 v[18:21], v216 offset0:114 offset1:163
	v_cvt_f64_f32_e32 v[14:15], v11
	v_mul_f64 v[14:15], v[14:15], s[0:1]
	v_cvt_f32_f64_e32 v11, v[14:15]
	v_mad_u64_u32 v[6:7], s[6:7], s4, v23, v[6:7]
	v_accvgpr_read_b32 v14, a36
	v_add_u32_e32 v7, s2, v7
	v_accvgpr_read_b32 v15, a37
	global_store_dwordx2 v[6:7], v[10:11], off
	s_waitcnt lgkmcnt(0)
	v_mul_f32_e32 v10, v15, v19
	v_fmac_f32_e32 v10, v14, v18
	v_cvt_f64_f32_e32 v[10:11], v10
	v_mul_f64 v[10:11], v[10:11], s[0:1]
	v_cvt_f32_f64_e32 v10, v[10:11]
	v_mul_f32_e32 v11, v15, v18
	v_fma_f32 v11, v14, v19, -v11
	v_cvt_f64_f32_e32 v[14:15], v11
	v_accvgpr_read_b32 v18, a46
	v_mul_f64 v[14:15], v[14:15], s[0:1]
	v_accvgpr_read_b32 v19, a47
	v_cvt_f32_f64_e32 v11, v[14:15]
	v_mad_u64_u32 v[14:15], s[6:7], s4, v23, v[6:7]
	v_mul_f32_e32 v6, v19, v9
	v_fmac_f32_e32 v6, v18, v8
	v_cvt_f64_f32_e32 v[6:7], v6
	v_add_u32_e32 v15, s2, v15
	v_mul_f64 v[6:7], v[6:7], s[0:1]
	global_store_dwordx2 v[14:15], v[10:11], off
	v_cvt_f32_f64_e32 v10, v[6:7]
	v_mul_f32_e32 v6, v19, v8
	v_fma_f32 v6, v18, v9, -v6
	v_cvt_f64_f32_e32 v[6:7], v6
	v_mul_f64 v[6:7], v[6:7], s[0:1]
	v_cvt_f32_f64_e32 v11, v[6:7]
	ds_read2_b64 v[6:9], v201 offset0:32 offset1:81
	v_mad_u64_u32 v[14:15], s[6:7], s4, v23, v[14:15]
	v_accvgpr_read_b32 v18, a44
	v_add_u32_e32 v15, s2, v15
	v_accvgpr_read_b32 v19, a45
	global_store_dwordx2 v[14:15], v[10:11], off
	s_waitcnt lgkmcnt(0)
	v_mul_f32_e32 v10, v19, v7
	v_fmac_f32_e32 v10, v18, v6
	v_mul_f32_e32 v6, v19, v6
	v_fma_f32 v6, v18, v7, -v6
	v_cvt_f64_f32_e32 v[10:11], v10
	v_cvt_f64_f32_e32 v[6:7], v6
	v_mul_f64 v[10:11], v[10:11], s[0:1]
	v_mul_f64 v[6:7], v[6:7], s[0:1]
	v_cvt_f32_f64_e32 v10, v[10:11]
	v_cvt_f32_f64_e32 v11, v[6:7]
	v_mad_u64_u32 v[6:7], s[6:7], s4, v23, v[14:15]
	v_accvgpr_read_b32 v18, a40
	v_add_u32_e32 v7, s2, v7
	v_accvgpr_read_b32 v19, a41
	global_store_dwordx2 v[6:7], v[10:11], off
	v_mul_f32_e32 v10, v19, v13
	v_fmac_f32_e32 v10, v18, v12
	v_cvt_f64_f32_e32 v[10:11], v10
	v_mul_f64 v[10:11], v[10:11], s[0:1]
	v_cvt_f32_f64_e32 v14, v[10:11]
	v_mul_f32_e32 v10, v19, v12
	v_fma_f32 v10, v18, v13, -v10
	v_cvt_f64_f32_e32 v[10:11], v10
	v_mul_f64 v[10:11], v[10:11], s[0:1]
	v_cvt_f32_f64_e32 v15, v[10:11]
	ds_read2_b64 v[10:13], v187 offset0:206 offset1:255
	v_mad_u64_u32 v[6:7], s[6:7], s4, v23, v[6:7]
	v_accvgpr_read_b32 v18, a34
	v_add_u32_e32 v7, s2, v7
	v_accvgpr_read_b32 v19, a35
	global_store_dwordx2 v[6:7], v[14:15], off
	s_waitcnt lgkmcnt(0)
	v_mul_f32_e32 v14, v19, v11
	v_fmac_f32_e32 v14, v18, v10
	v_mul_f32_e32 v10, v19, v10
	v_fma_f32 v10, v18, v11, -v10
	v_cvt_f64_f32_e32 v[14:15], v14
	v_cvt_f64_f32_e32 v[10:11], v10
	v_mul_f64 v[14:15], v[14:15], s[0:1]
	v_mul_f64 v[10:11], v[10:11], s[0:1]
	v_mad_u64_u32 v[6:7], s[6:7], s4, v23, v[6:7]
	v_cvt_f32_f64_e32 v14, v[14:15]
	v_cvt_f32_f64_e32 v15, v[10:11]
	v_add_u32_e32 v7, s2, v7
	global_store_dwordx2 v[6:7], v[14:15], off
	v_accvgpr_read_b32 v14, a32
	v_accvgpr_read_b32 v15, a33
	v_mul_f32_e32 v10, v15, v17
	v_fmac_f32_e32 v10, v14, v16
	v_cvt_f64_f32_e32 v[10:11], v10
	v_mul_f64 v[10:11], v[10:11], s[0:1]
	v_cvt_f32_f64_e32 v10, v[10:11]
	v_mul_f32_e32 v11, v15, v16
	v_fma_f32 v11, v14, v17, -v11
	v_cvt_f64_f32_e32 v[14:15], v11
	v_mul_f64 v[14:15], v[14:15], s[0:1]
	v_cvt_f32_f64_e32 v11, v[14:15]
	ds_read2_b64 v[14:17], v189 offset0:76 offset1:125
	v_mad_u64_u32 v[6:7], s[6:7], s4, v22, v[6:7]
	v_accvgpr_read_b32 v18, a30
	v_add_u32_e32 v7, s3, v7
	v_accvgpr_read_b32 v19, a31
	global_store_dwordx2 v[6:7], v[10:11], off
	s_waitcnt lgkmcnt(0)
	v_mul_f32_e32 v10, v19, v15
	v_fmac_f32_e32 v10, v18, v14
	v_cvt_f64_f32_e32 v[10:11], v10
	v_mul_f64 v[10:11], v[10:11], s[0:1]
	v_cvt_f32_f64_e32 v10, v[10:11]
	v_mul_f32_e32 v11, v19, v14
	v_fma_f32 v11, v18, v15, -v11
	v_cvt_f64_f32_e32 v[14:15], v11
	v_mul_f64 v[14:15], v[14:15], s[0:1]
	v_cvt_f32_f64_e32 v11, v[14:15]
	v_mad_u64_u32 v[6:7], s[6:7], s4, v23, v[6:7]
	v_accvgpr_read_b32 v14, a28
	v_add_u32_e32 v7, s2, v7
	v_accvgpr_read_b32 v15, a29
	global_store_dwordx2 v[6:7], v[10:11], off
	v_mul_f32_e32 v10, v15, v21
	v_fmac_f32_e32 v10, v14, v20
	v_cvt_f64_f32_e32 v[10:11], v10
	v_mul_f64 v[10:11], v[10:11], s[0:1]
	v_cvt_f32_f64_e32 v10, v[10:11]
	v_mul_f32_e32 v11, v15, v20
	v_fma_f32 v11, v14, v21, -v11
	ds_read2_b64 v[18:21], v200 offset0:122 offset1:171
	v_cvt_f64_f32_e32 v[14:15], v11
	v_mul_f64 v[14:15], v[14:15], s[0:1]
	v_cvt_f32_f64_e32 v11, v[14:15]
	v_mad_u64_u32 v[6:7], s[6:7], s4, v23, v[6:7]
	v_accvgpr_read_b32 v14, a26
	v_add_u32_e32 v7, s2, v7
	v_accvgpr_read_b32 v15, a27
	global_store_dwordx2 v[6:7], v[10:11], off
	s_waitcnt lgkmcnt(0)
	v_mul_f32_e32 v10, v15, v19
	v_fmac_f32_e32 v10, v14, v18
	v_cvt_f64_f32_e32 v[10:11], v10
	v_mul_f64 v[10:11], v[10:11], s[0:1]
	v_cvt_f32_f64_e32 v10, v[10:11]
	v_mul_f32_e32 v11, v15, v18
	v_fma_f32 v11, v14, v19, -v11
	v_cvt_f64_f32_e32 v[14:15], v11
	v_accvgpr_read_b32 v18, a24
	v_mul_f64 v[14:15], v[14:15], s[0:1]
	v_accvgpr_read_b32 v19, a25
	v_cvt_f32_f64_e32 v11, v[14:15]
	v_mad_u64_u32 v[14:15], s[6:7], s4, v23, v[6:7]
	v_mul_f32_e32 v6, v19, v9
	v_fmac_f32_e32 v6, v18, v8
	v_cvt_f64_f32_e32 v[6:7], v6
	v_add_u32_e32 v15, s2, v15
	v_mul_f64 v[6:7], v[6:7], s[0:1]
	global_store_dwordx2 v[14:15], v[10:11], off
	v_cvt_f32_f64_e32 v10, v[6:7]
	v_mul_f32_e32 v6, v19, v8
	v_fma_f32 v6, v18, v9, -v6
	scratch_load_dwordx2 v[18:19], off, off offset:92 ; 8-byte Folded Reload
	v_cvt_f64_f32_e32 v[6:7], v6
	v_mul_f64 v[6:7], v[6:7], s[0:1]
	v_cvt_f32_f64_e32 v11, v[6:7]
	ds_read2_b64 v[6:9], v188 offset0:168 offset1:217
	v_mad_u64_u32 v[14:15], s[6:7], s4, v23, v[14:15]
	v_add_u32_e32 v15, s2, v15
	global_store_dwordx2 v[14:15], v[10:11], off
	s_waitcnt vmcnt(1) lgkmcnt(0)
	v_mul_f32_e32 v10, v19, v7
	v_fmac_f32_e32 v10, v18, v6
	v_mul_f32_e32 v6, v19, v6
	v_fma_f32 v6, v18, v7, -v6
	v_cvt_f64_f32_e32 v[10:11], v10
	v_cvt_f64_f32_e32 v[6:7], v6
	v_mul_f64 v[10:11], v[10:11], s[0:1]
	v_mul_f64 v[6:7], v[6:7], s[0:1]
	v_cvt_f32_f64_e32 v10, v[10:11]
	v_cvt_f32_f64_e32 v11, v[6:7]
	v_mad_u64_u32 v[6:7], s[6:7], s4, v23, v[14:15]
	v_accvgpr_read_b32 v14, a218
	v_add_u32_e32 v7, s2, v7
	v_accvgpr_read_b32 v15, a219
	global_store_dwordx2 v[6:7], v[10:11], off
	v_mul_f32_e32 v10, v15, v13
	v_fmac_f32_e32 v10, v14, v12
	v_cvt_f64_f32_e32 v[10:11], v10
	v_mul_f64 v[10:11], v[10:11], s[0:1]
	v_cvt_f32_f64_e32 v10, v[10:11]
	v_mul_f32_e32 v11, v15, v12
	v_fma_f32 v11, v14, v13, -v11
	v_cvt_f64_f32_e32 v[12:13], v11
	v_mul_f64 v[12:13], v[12:13], s[0:1]
	v_cvt_f32_f64_e32 v11, v[12:13]
	v_mad_u64_u32 v[6:7], s[6:7], s4, v23, v[6:7]
	v_accvgpr_read_b32 v12, a162
	v_add_u32_e32 v7, s2, v7
	v_accvgpr_read_b32 v13, a163
	global_store_dwordx2 v[6:7], v[10:11], off
	v_mul_f32_e32 v10, v13, v1
	v_fmac_f32_e32 v10, v12, v0
	v_mul_f32_e32 v0, v13, v0
	v_fma_f32 v0, v12, v1, -v0
	v_cvt_f64_f32_e32 v[10:11], v10
	v_cvt_f64_f32_e32 v[0:1], v0
	v_mul_f64 v[10:11], v[10:11], s[0:1]
	v_mul_f64 v[0:1], v[0:1], s[0:1]
	v_cvt_f32_f64_e32 v10, v[10:11]
	v_cvt_f32_f64_e32 v11, v[0:1]
	v_mad_u64_u32 v[0:1], s[6:7], s4, v22, v[6:7]
	v_add_u32_e32 v1, s3, v1
	global_store_dwordx2 v[0:1], v[10:11], off
	scratch_load_dwordx2 v[10:11], off, off offset:76 ; 8-byte Folded Reload
	v_accvgpr_read_b32 v12, a186
	v_accvgpr_read_b32 v13, a187
	s_waitcnt vmcnt(0)
	v_mul_f32_e32 v6, v11, v17
	v_fmac_f32_e32 v6, v10, v16
	v_cvt_f64_f32_e32 v[6:7], v6
	v_mul_f64 v[6:7], v[6:7], s[0:1]
	v_cvt_f32_f64_e32 v6, v[6:7]
	v_mul_f32_e32 v7, v11, v16
	v_fma_f32 v7, v10, v17, -v7
	v_cvt_f64_f32_e32 v[10:11], v7
	v_mul_f64 v[10:11], v[10:11], s[0:1]
	v_cvt_f32_f64_e32 v7, v[10:11]
	v_mov_b32_e32 v10, 0xab8
	v_mad_u64_u32 v[0:1], s[6:7], s4, v10, v[0:1]
	v_add_u32_e32 v1, s2, v1
	global_store_dwordx2 v[0:1], v[6:7], off
	v_mul_f32_e32 v6, v13, v3
	v_fmac_f32_e32 v6, v12, v2
	v_mul_f32_e32 v2, v13, v2
	v_fma_f32 v2, v12, v3, -v2
	v_cvt_f64_f32_e32 v[6:7], v6
	v_cvt_f64_f32_e32 v[2:3], v2
	v_mul_f64 v[6:7], v[6:7], s[0:1]
	v_mul_f64 v[2:3], v[2:3], s[0:1]
	v_mad_u64_u32 v[0:1], s[6:7], s4, v10, v[0:1]
	v_cvt_f32_f64_e32 v6, v[6:7]
	v_cvt_f32_f64_e32 v7, v[2:3]
	v_add_u32_e32 v1, s2, v1
	global_store_dwordx2 v[0:1], v[6:7], off
	scratch_load_dwordx2 v[6:7], off, off offset:56 ; 8-byte Folded Reload
	v_mov_b32_e32 v10, 0xab8
	v_mad_u64_u32 v[0:1], s[6:7], s4, v10, v[0:1]
	v_add_u32_e32 v1, s2, v1
	s_waitcnt vmcnt(0)
	v_mul_f32_e32 v2, v7, v21
	v_fmac_f32_e32 v2, v6, v20
	v_cvt_f64_f32_e32 v[2:3], v2
	v_mul_f64 v[2:3], v[2:3], s[0:1]
	v_cvt_f32_f64_e32 v2, v[2:3]
	v_mul_f32_e32 v3, v7, v20
	v_fma_f32 v3, v6, v21, -v3
	v_cvt_f64_f32_e32 v[6:7], v3
	v_mul_f64 v[6:7], v[6:7], s[0:1]
	v_cvt_f32_f64_e32 v3, v[6:7]
	scratch_load_dwordx2 v[6:7], off, off offset:48 ; 8-byte Folded Reload
	s_nop 0
	global_store_dwordx2 v[0:1], v[2:3], off
	v_mad_u64_u32 v[0:1], s[6:7], s4, v10, v[0:1]
	v_add_u32_e32 v1, s2, v1
	s_waitcnt vmcnt(1)
	v_mul_f32_e32 v2, v7, v5
	v_fmac_f32_e32 v2, v6, v4
	v_cvt_f64_f32_e32 v[2:3], v2
	v_mul_f64 v[2:3], v[2:3], s[0:1]
	v_cvt_f32_f64_e32 v2, v[2:3]
	v_mul_f32_e32 v3, v7, v4
	v_fma_f32 v3, v6, v5, -v3
	v_cvt_f64_f32_e32 v[4:5], v3
	v_mul_f64 v[4:5], v[4:5], s[0:1]
	v_cvt_f32_f64_e32 v3, v[4:5]
	scratch_load_dwordx2 v[4:5], off, off offset:84 ; 8-byte Folded Reload
	scratch_load_dwordx2 v[6:7], off, off offset:68 ; 8-byte Folded Reload
	s_nop 0
	global_store_dwordx2 v[0:1], v[2:3], off
	v_mad_u64_u32 v[0:1], s[6:7], s4, v10, v[0:1]
	v_add_u32_e32 v1, s2, v1
	s_waitcnt vmcnt(2)
	v_mul_f32_e32 v2, v5, v9
	v_fmac_f32_e32 v2, v4, v8
	v_cvt_f64_f32_e32 v[2:3], v2
	v_mul_f64 v[2:3], v[2:3], s[0:1]
	v_cvt_f32_f64_e32 v2, v[2:3]
	v_mul_f32_e32 v3, v5, v8
	v_fma_f32 v3, v4, v9, -v3
	v_cvt_f64_f32_e32 v[4:5], v3
	v_mul_f64 v[4:5], v[4:5], s[0:1]
	v_cvt_f32_f64_e32 v3, v[4:5]
	ds_read_b64 v[4:5], v186 offset:18816
	global_store_dwordx2 v[0:1], v[2:3], off
	s_waitcnt vmcnt(2) lgkmcnt(0)
	v_mul_f32_e32 v2, v7, v5
	v_fmac_f32_e32 v2, v6, v4
	v_cvt_f64_f32_e32 v[2:3], v2
	v_mul_f64 v[2:3], v[2:3], s[0:1]
	v_cvt_f32_f64_e32 v2, v[2:3]
	v_mul_f32_e32 v3, v7, v4
	v_fma_f32 v3, v6, v5, -v3
	v_cvt_f64_f32_e32 v[4:5], v3
	v_mul_f64 v[4:5], v[4:5], s[0:1]
	v_mad_u64_u32 v[0:1], s[0:1], s4, v10, v[0:1]
	v_cvt_f32_f64_e32 v3, v[4:5]
	v_add_u32_e32 v1, s2, v1
	global_store_dwordx2 v[0:1], v[2:3], off
.LBB0_2:
	s_endpgm
	.section	.rodata,"a",@progbits
	.p2align	6, 0x0
	.amdhsa_kernel bluestein_single_back_len2401_dim1_sp_op_CI_CI
		.amdhsa_group_segment_fixed_size 19208
		.amdhsa_private_segment_fixed_size 104
		.amdhsa_kernarg_size 104
		.amdhsa_user_sgpr_count 2
		.amdhsa_user_sgpr_dispatch_ptr 0
		.amdhsa_user_sgpr_queue_ptr 0
		.amdhsa_user_sgpr_kernarg_segment_ptr 1
		.amdhsa_user_sgpr_dispatch_id 0
		.amdhsa_user_sgpr_kernarg_preload_length 0
		.amdhsa_user_sgpr_kernarg_preload_offset 0
		.amdhsa_user_sgpr_private_segment_size 0
		.amdhsa_uses_dynamic_stack 0
		.amdhsa_enable_private_segment 1
		.amdhsa_system_sgpr_workgroup_id_x 1
		.amdhsa_system_sgpr_workgroup_id_y 0
		.amdhsa_system_sgpr_workgroup_id_z 0
		.amdhsa_system_sgpr_workgroup_info 0
		.amdhsa_system_vgpr_workitem_id 0
		.amdhsa_next_free_vgpr 512
		.amdhsa_next_free_sgpr 20
		.amdhsa_accum_offset 256
		.amdhsa_reserve_vcc 1
		.amdhsa_float_round_mode_32 0
		.amdhsa_float_round_mode_16_64 0
		.amdhsa_float_denorm_mode_32 3
		.amdhsa_float_denorm_mode_16_64 3
		.amdhsa_dx10_clamp 1
		.amdhsa_ieee_mode 1
		.amdhsa_fp16_overflow 0
		.amdhsa_tg_split 0
		.amdhsa_exception_fp_ieee_invalid_op 0
		.amdhsa_exception_fp_denorm_src 0
		.amdhsa_exception_fp_ieee_div_zero 0
		.amdhsa_exception_fp_ieee_overflow 0
		.amdhsa_exception_fp_ieee_underflow 0
		.amdhsa_exception_fp_ieee_inexact 0
		.amdhsa_exception_int_div_zero 0
	.end_amdhsa_kernel
	.text
.Lfunc_end0:
	.size	bluestein_single_back_len2401_dim1_sp_op_CI_CI, .Lfunc_end0-bluestein_single_back_len2401_dim1_sp_op_CI_CI
                                        ; -- End function
	.section	.AMDGPU.csdata,"",@progbits
; Kernel info:
; codeLenInByte = 53888
; NumSgprs: 26
; NumVgprs: 256
; NumAgprs: 256
; TotalNumVgprs: 512
; ScratchSize: 104
; MemoryBound: 0
; FloatMode: 240
; IeeeMode: 1
; LDSByteSize: 19208 bytes/workgroup (compile time only)
; SGPRBlocks: 3
; VGPRBlocks: 63
; NumSGPRsForWavesPerEU: 26
; NumVGPRsForWavesPerEU: 512
; AccumOffset: 256
; Occupancy: 1
; WaveLimiterHint : 1
; COMPUTE_PGM_RSRC2:SCRATCH_EN: 1
; COMPUTE_PGM_RSRC2:USER_SGPR: 2
; COMPUTE_PGM_RSRC2:TRAP_HANDLER: 0
; COMPUTE_PGM_RSRC2:TGID_X_EN: 1
; COMPUTE_PGM_RSRC2:TGID_Y_EN: 0
; COMPUTE_PGM_RSRC2:TGID_Z_EN: 0
; COMPUTE_PGM_RSRC2:TIDIG_COMP_CNT: 0
; COMPUTE_PGM_RSRC3_GFX90A:ACCUM_OFFSET: 63
; COMPUTE_PGM_RSRC3_GFX90A:TG_SPLIT: 0
	.text
	.p2alignl 6, 3212836864
	.fill 256, 4, 3212836864
	.type	__hip_cuid_f7c9fbbd3a654702,@object ; @__hip_cuid_f7c9fbbd3a654702
	.section	.bss,"aw",@nobits
	.globl	__hip_cuid_f7c9fbbd3a654702
__hip_cuid_f7c9fbbd3a654702:
	.byte	0                               ; 0x0
	.size	__hip_cuid_f7c9fbbd3a654702, 1

	.ident	"AMD clang version 19.0.0git (https://github.com/RadeonOpenCompute/llvm-project roc-6.4.0 25133 c7fe45cf4b819c5991fe208aaa96edf142730f1d)"
	.section	".note.GNU-stack","",@progbits
	.addrsig
	.addrsig_sym __hip_cuid_f7c9fbbd3a654702
	.amdgpu_metadata
---
amdhsa.kernels:
  - .agpr_count:     256
    .args:
      - .actual_access:  read_only
        .address_space:  global
        .offset:         0
        .size:           8
        .value_kind:     global_buffer
      - .actual_access:  read_only
        .address_space:  global
        .offset:         8
        .size:           8
        .value_kind:     global_buffer
      - .actual_access:  read_only
        .address_space:  global
        .offset:         16
        .size:           8
        .value_kind:     global_buffer
      - .actual_access:  read_only
        .address_space:  global
        .offset:         24
        .size:           8
        .value_kind:     global_buffer
      - .actual_access:  read_only
        .address_space:  global
        .offset:         32
        .size:           8
        .value_kind:     global_buffer
      - .offset:         40
        .size:           8
        .value_kind:     by_value
      - .address_space:  global
        .offset:         48
        .size:           8
        .value_kind:     global_buffer
      - .address_space:  global
        .offset:         56
        .size:           8
        .value_kind:     global_buffer
      - .address_space:  global
        .offset:         64
        .size:           8
        .value_kind:     global_buffer
      - .address_space:  global
        .offset:         72
        .size:           8
        .value_kind:     global_buffer
      - .offset:         80
        .size:           4
        .value_kind:     by_value
      - .address_space:  global
        .offset:         88
        .size:           8
        .value_kind:     global_buffer
      - .address_space:  global
        .offset:         96
        .size:           8
        .value_kind:     global_buffer
    .group_segment_fixed_size: 19208
    .kernarg_segment_align: 8
    .kernarg_segment_size: 104
    .language:       OpenCL C
    .language_version:
      - 2
      - 0
    .max_flat_workgroup_size: 49
    .name:           bluestein_single_back_len2401_dim1_sp_op_CI_CI
    .private_segment_fixed_size: 104
    .sgpr_count:     26
    .sgpr_spill_count: 0
    .symbol:         bluestein_single_back_len2401_dim1_sp_op_CI_CI.kd
    .uniform_work_group_size: 1
    .uses_dynamic_stack: false
    .vgpr_count:     512
    .vgpr_spill_count: 25
    .wavefront_size: 64
amdhsa.target:   amdgcn-amd-amdhsa--gfx950
amdhsa.version:
  - 1
  - 2
...

	.end_amdgpu_metadata
